;; amdgpu-corpus repo=ROCm/rocFFT kind=compiled arch=gfx1201 opt=O3
	.text
	.amdgcn_target "amdgcn-amd-amdhsa--gfx1201"
	.amdhsa_code_object_version 6
	.protected	bluestein_single_fwd_len2023_dim1_sp_op_CI_CI ; -- Begin function bluestein_single_fwd_len2023_dim1_sp_op_CI_CI
	.globl	bluestein_single_fwd_len2023_dim1_sp_op_CI_CI
	.p2align	8
	.type	bluestein_single_fwd_len2023_dim1_sp_op_CI_CI,@function
bluestein_single_fwd_len2023_dim1_sp_op_CI_CI: ; @bluestein_single_fwd_len2023_dim1_sp_op_CI_CI
; %bb.0:
	s_load_b128 s[12:15], s[0:1], 0x28
	v_mul_u32_u24_e32 v1, 0x227, v0
	s_mov_b32 s2, exec_lo
	v_mov_b32_e32 v5, 0
	s_delay_alu instid0(VALU_DEP_2) | instskip(NEXT) | instid1(VALU_DEP_1)
	v_lshrrev_b32_e32 v1, 16, v1
	v_add_nc_u32_e32 v4, ttmp9, v1
	s_wait_kmcnt 0x0
	s_delay_alu instid0(VALU_DEP_1)
	v_cmpx_gt_u64_e64 s[12:13], v[4:5]
	s_cbranch_execz .LBB0_10
; %bb.1:
	s_clause 0x1
	s_load_b128 s[4:7], s[0:1], 0x18
	s_load_b128 s[8:11], s[0:1], 0x0
	v_mul_lo_u16 v1, 0x77, v1
	s_load_b64 s[0:1], s[0:1], 0x38
	v_mov_b32_e32 v5, v4
	s_delay_alu instid0(VALU_DEP_2) | instskip(SKIP_2) | instid1(VALU_DEP_1)
	v_sub_nc_u16 v30, v0, v1
	scratch_store_b64 off, v[5:6], off offset:48 ; 8-byte Folded Spill
	v_and_b32_e32 v96, 0xffff, v30
	v_lshlrev_b32_e32 v145, 3, v96
	s_wait_kmcnt 0x0
	s_load_b128 s[16:19], s[4:5], 0x0
	s_clause 0xe
	global_load_b64 v[127:128], v145, s[8:9]
	global_load_b64 v[129:130], v145, s[8:9] offset:952
	global_load_b64 v[121:122], v145, s[8:9] offset:1904
	;; [unrolled: 1-line block ×14, first 2 shown]
	v_add_nc_u32_e32 v42, 0x1400, v145
	s_wait_kmcnt 0x0
	v_mad_co_u64_u32 v[0:1], null, s18, v4, 0
	v_mad_co_u64_u32 v[2:3], null, s16, v96, 0
	s_mul_u64 s[2:3], s[16:17], 0x3b8
	s_delay_alu instid0(VALU_DEP_1) | instskip(NEXT) | instid1(VALU_DEP_1)
	v_mad_co_u64_u32 v[4:5], null, s19, v4, v[1:2]
	v_mad_co_u64_u32 v[5:6], null, s17, v96, v[3:4]
	v_mov_b32_e32 v1, v4
	s_delay_alu instid0(VALU_DEP_1) | instskip(NEXT) | instid1(VALU_DEP_3)
	v_lshlrev_b64_e32 v[0:1], 3, v[0:1]
	v_mov_b32_e32 v3, v5
	s_delay_alu instid0(VALU_DEP_2) | instskip(NEXT) | instid1(VALU_DEP_2)
	v_add_co_u32 v0, vcc_lo, s14, v0
	v_lshlrev_b64_e32 v[2:3], 3, v[2:3]
	s_delay_alu instid0(VALU_DEP_4) | instskip(NEXT) | instid1(VALU_DEP_2)
	v_add_co_ci_u32_e32 v1, vcc_lo, s15, v1, vcc_lo
	v_add_co_u32 v0, vcc_lo, v0, v2
	s_wait_alu 0xfffd
	s_delay_alu instid0(VALU_DEP_2) | instskip(NEXT) | instid1(VALU_DEP_2)
	v_add_co_ci_u32_e32 v1, vcc_lo, v1, v3, vcc_lo
	v_add_co_u32 v2, vcc_lo, v0, s2
	s_wait_alu 0xfffd
	s_delay_alu instid0(VALU_DEP_2) | instskip(NEXT) | instid1(VALU_DEP_2)
	;; [unrolled: 4-line block ×4, first 2 shown]
	v_add_co_ci_u32_e32 v7, vcc_lo, s3, v5, vcc_lo
	v_add_co_u32 v8, vcc_lo, v6, s2
	s_wait_alu 0xfffd
	s_delay_alu instid0(VALU_DEP_2)
	v_add_co_ci_u32_e32 v9, vcc_lo, s3, v7, vcc_lo
	s_clause 0x3
	global_load_b64 v[0:1], v[0:1], off
	global_load_b64 v[2:3], v[2:3], off
	;; [unrolled: 1-line block ×4, first 2 shown]
	v_add_co_u32 v10, vcc_lo, v8, s2
	s_wait_alu 0xfffd
	v_add_co_ci_u32_e32 v11, vcc_lo, s3, v9, vcc_lo
	global_load_b64 v[8:9], v[8:9], off
	v_add_co_u32 v12, vcc_lo, v10, s2
	s_wait_alu 0xfffd
	v_add_co_ci_u32_e32 v13, vcc_lo, s3, v11, vcc_lo
	global_load_b64 v[10:11], v[10:11], off
	;; [unrolled: 4-line block ×11, first 2 shown]
	v_add_co_u32 v33, vcc_lo, v31, s2
	s_wait_alu 0xfffd
	v_add_co_ci_u32_e32 v34, vcc_lo, s3, v32, vcc_lo
	v_cmp_gt_u16_e32 vcc_lo, 51, v30
	s_wait_loadcnt 0xe
	v_mul_f32_e32 v37, v1, v128
	s_wait_loadcnt 0xd
	v_dual_mul_f32 v38, v0, v128 :: v_dual_mul_f32 v39, v3, v130
	s_wait_loadcnt 0xc
	v_mul_f32_e32 v46, v4, v122
	s_wait_loadcnt 0xb
	v_mul_f32_e32 v47, v6, v126
	v_dual_fmac_f32 v37, v0, v127 :: v_dual_mul_f32 v0, v5, v122
	global_load_b64 v[109:110], v145, s[8:9] offset:14280
	global_load_b64 v[35:36], v[31:32], off
	global_load_b64 v[113:114], v145, s[8:9] offset:15232
	global_load_b64 v[32:33], v[33:34], off
	v_add_nc_u32_e32 v44, 0x2400, v145
	v_add_nc_u32_e32 v41, 0xc00, v145
	;; [unrolled: 1-line block ×5, first 2 shown]
	v_fma_f32 v38, v1, v127, -v38
	v_dual_mul_f32 v1, v2, v130 :: v_dual_fmac_f32 v0, v4, v121
	s_wait_loadcnt 0xe
	v_dual_mul_f32 v4, v9, v120 :: v_dual_fmac_f32 v39, v2, v129
	v_mul_f32_e32 v2, v7, v126
	v_add_nc_u32_e32 v34, 0x400, v145
	s_load_b128 s[4:7], s[6:7], 0x0
	s_delay_alu instid0(VALU_DEP_3)
	v_fmac_f32_e32 v4, v8, v119
	s_clause 0x1
	scratch_store_b64 off, v[56:57], off offset:32
	scratch_store_b64 off, v[58:59], off offset:40
	v_fmac_f32_e32 v2, v6, v125
	s_wait_loadcnt 0xd
	v_mul_f32_e32 v6, v11, v124
	v_fma_f32 v40, v3, v129, -v1
	v_fma_f32 v1, v5, v121, -v46
	;; [unrolled: 1-line block ×3, first 2 shown]
	s_delay_alu instid0(VALU_DEP_4)
	v_dual_mul_f32 v5, v8, v120 :: v_dual_fmac_f32 v6, v10, v123
	ds_store_2addr_b64 v145, v[37:38], v[39:40] offset1:119
	s_wait_loadcnt 0xb
	v_mul_f32_e32 v8, v14, v112
	ds_store_2addr_b64 v34, v[0:1], v[2:3] offset0:110 offset1:229
	v_dual_mul_f32 v1, v10, v124 :: v_dual_mul_f32 v0, v13, v118
	v_fma_f32 v5, v9, v119, -v5
	v_dual_mul_f32 v3, v12, v118 :: v_dual_mul_f32 v2, v15, v112
	s_delay_alu instid0(VALU_DEP_3) | instskip(NEXT) | instid1(VALU_DEP_4)
	v_fma_f32 v7, v11, v123, -v1
	v_fmac_f32_e32 v0, v12, v117
	s_wait_loadcnt 0xa
	v_mul_f32_e32 v9, v16, v116
	v_fma_f32 v1, v13, v117, -v3
	v_fmac_f32_e32 v2, v14, v111
	v_fma_f32 v3, v15, v111, -v8
	ds_store_2addr_b64 v41, v[4:5], v[6:7] offset0:92 offset1:211
	s_wait_loadcnt 0x9
	v_mul_f32_e32 v4, v19, v53
	s_wait_loadcnt 0x7
	v_dual_mul_f32 v8, v17, v116 :: v_dual_mul_f32 v7, v22, v59
	ds_store_2addr_b64 v42, v[0:1], v[2:3] offset0:74 offset1:193
	v_mul_f32_e32 v1, v18, v53
	v_mul_f32_e32 v3, v20, v57
	s_wait_loadcnt 0x5
	v_dual_mul_f32 v0, v21, v57 :: v_dual_mul_f32 v11, v26, v55
	v_fmac_f32_e32 v4, v18, v52
	v_mul_f32_e32 v2, v23, v59
	v_fma_f32 v5, v19, v52, -v1
	v_fma_f32 v1, v21, v56, -v3
	v_mul_f32_e32 v6, v25, v49
	v_fma_f32 v3, v23, v58, -v7
	v_dual_mul_f32 v7, v24, v49 :: v_dual_mul_f32 v10, v27, v55
	v_fmac_f32_e32 v8, v16, v115
	s_wait_loadcnt 0x4
	v_mul_f32_e32 v12, v29, v51
	v_mul_f32_e32 v13, v28, v51
	v_fma_f32 v9, v17, v115, -v9
	v_fmac_f32_e32 v0, v20, v56
	v_fmac_f32_e32 v2, v22, v58
	v_fma_f32 v7, v25, v48, -v7
	v_fmac_f32_e32 v10, v26, v54
	v_fma_f32 v11, v27, v54, -v11
	;; [unrolled: 2-line block ×3, first 2 shown]
	s_clause 0x3
	scratch_store_b64 off, v[48:49], off
	scratch_store_b64 off, v[50:51], off offset:8
	scratch_store_b64 off, v[52:53], off offset:16
	;; [unrolled: 1-line block ×3, first 2 shown]
	s_wait_loadcnt 0x2
	v_mul_f32_e32 v14, v36, v110
	v_mul_f32_e32 v15, v35, v110
	s_wait_loadcnt 0x0
	v_mul_f32_e32 v16, v33, v114
	v_mul_f32_e32 v17, v32, v114
	v_fmac_f32_e32 v6, v24, v48
	v_fmac_f32_e32 v14, v35, v109
	v_fma_f32 v15, v36, v109, -v15
	v_fmac_f32_e32 v16, v32, v113
	v_fma_f32 v17, v33, v113, -v17
	ds_store_2addr_b64 v43, v[8:9], v[4:5] offset0:56 offset1:175
	ds_store_2addr_b64 v44, v[0:1], v[2:3] offset0:38 offset1:157
	;; [unrolled: 1-line block ×4, first 2 shown]
	ds_store_b64 v145, v[16:17] offset:15232
	global_wb scope:SCOPE_SE
	s_wait_storecnt_dscnt 0x0
	s_wait_kmcnt 0x0
	s_barrier_signal -1
	s_barrier_wait -1
	global_inv scope:SCOPE_SE
	ds_load_2addr_b64 v[24:27], v145 offset1:119
	ds_load_b64 v[28:29], v145 offset:15232
	ds_load_2addr_b64 v[32:35], v34 offset0:110 offset1:229
	ds_load_2addr_b64 v[20:23], v45 offset0:130 offset1:249
	;; [unrolled: 1-line block ×7, first 2 shown]
	global_wb scope:SCOPE_SE
	s_wait_dscnt 0x0
	s_barrier_signal -1
	s_barrier_wait -1
	global_inv scope:SCOPE_SE
	v_add_f32_e32 v37, v25, v27
	v_add_f32_e32 v39, v29, v27
	v_dual_sub_f32 v27, v27, v29 :: v_dual_add_f32 v36, v24, v26
	v_sub_f32_e32 v48, v35, v21
	v_dual_add_f32 v38, v28, v26 :: v_dual_add_f32 v41, v22, v32
	s_delay_alu instid0(VALU_DEP_3)
	v_mul_f32_e32 v57, 0xbf7ee86f, v27
	v_sub_f32_e32 v43, v32, v22
	v_mul_f32_e32 v53, 0xbf2c7751, v27
	v_dual_mul_f32 v55, 0xbf65296c, v27 :: v_dual_add_f32 v32, v36, v32
	v_mul_f32_e32 v61, 0xbf4c4adb, v27
	v_dual_sub_f32 v44, v33, v23 :: v_dual_mul_f32 v79, 0xbf65296c, v48
	v_sub_f32_e32 v52, v13, v19
	v_dual_sub_f32 v40, v26, v28 :: v_dual_sub_f32 v51, v12, v18
	v_dual_add_f32 v42, v23, v33 :: v_dual_mul_f32 v59, 0xbf763a35, v27
	s_delay_alu instid0(VALU_DEP_4)
	v_dual_mul_f32 v67, 0xbf7ee86f, v44 :: v_dual_mul_f32 v68, 0xbf7ee86f, v43
	v_mul_f32_e32 v91, 0xbf7ee86f, v48
	v_dual_mul_f32 v69, 0xbf4c4adb, v44 :: v_dual_mul_f32 v70, 0xbf4c4adb, v43
	v_dual_mul_f32 v71, 0xbe3c28d5, v44 :: v_dual_mul_f32 v72, 0xbe3c28d5, v43
	;; [unrolled: 1-line block ×5, first 2 shown]
	v_fma_f32 v142, 0x3f3d2fb0, v38, -v53
	v_fmac_f32_e32 v53, 0x3f3d2fb0, v38
	v_mul_f32_e32 v66, 0xbf2c7751, v43
	v_mul_f32_e32 v43, 0x3eb8f4ab, v43
	v_dual_mul_f32 v95, 0xbe3c28d5, v52 :: v_dual_add_f32 v32, v32, v34
	v_add_f32_e32 v49, v18, v12
	v_dual_add_f32 v33, v37, v33 :: v_dual_mul_f32 v36, 0xbeb8f4ab, v27
	v_mul_f32_e32 v89, 0xbeb8f4ab, v48
	v_mul_f32_e32 v37, 0xbeb8f4ab, v40
	v_dual_fmamk_f32 v165, v42, 0xbf59a7d5, v74 :: v_dual_add_f32 v12, v32, v12
	v_dual_add_f32 v45, v20, v34 :: v_dual_add_f32 v46, v21, v35
	v_mul_f32_e32 v65, 0xbf2c7751, v44
	v_sub_f32_e32 v47, v34, v20
	v_dual_mul_f32 v54, 0xbf2c7751, v40 :: v_dual_add_f32 v33, v33, v35
	v_fma_f32 v34, 0x3f6eb680, v38, -v36
	v_dual_fmamk_f32 v35, v39, 0x3f6eb680, v37 :: v_dual_fmac_f32 v36, 0x3f6eb680, v38
	v_mul_f32_e32 v58, 0xbf7ee86f, v40
	v_fma_f32 v168, 0x3ee437d1, v41, -v77
	v_dual_fmac_f32 v77, 0x3ee437d1, v41 :: v_dual_add_f32 v12, v12, v14
	v_dual_add_f32 v50, v19, v13 :: v_dual_mul_f32 v63, 0xbf06c442, v27
	v_dual_sub_f32 v26, v15, v17 :: v_dual_mul_f32 v27, 0xbe3c28d5, v27
	v_dual_mul_f32 v56, 0xbf65296c, v40 :: v_dual_mul_f32 v137, 0xbf65296c, v51
	v_mul_f32_e32 v64, 0xbf06c442, v40
	v_fma_f32 v37, 0x3f6eb680, v39, -v37
	v_mul_f32_e32 v60, 0xbf763a35, v40
	v_dual_fmamk_f32 v143, v39, 0x3f3d2fb0, v54 :: v_dual_add_f32 v34, v24, v34
	v_mul_f32_e32 v62, 0xbf4c4adb, v40
	v_dual_mul_f32 v40, 0xbe3c28d5, v40 :: v_dual_mul_f32 v131, 0xbe3c28d5, v51
	v_fma_f32 v144, 0x3ee437d1, v38, -v55
	v_fma_f32 v180, 0x3f6eb680, v45, -v89
	v_dual_fmac_f32 v89, 0x3f6eb680, v45 :: v_dual_add_f32 v12, v12, v4
	v_add_f32_e32 v35, v25, v35
	v_dual_fmamk_f32 v149, v39, 0x3dbcf732, v58 :: v_dual_add_f32 v142, v24, v142
	v_fma_f32 v58, 0x3dbcf732, v39, -v58
	v_dual_mul_f32 v44, 0x3eb8f4ab, v44 :: v_dual_mul_f32 v135, 0x3eb8f4ab, v51
	s_delay_alu instid0(VALU_DEP_3)
	v_dual_mul_f32 v80, 0xbf65296c, v47 :: v_dual_add_f32 v149, v25, v149
	v_dual_mul_f32 v81, 0xbf4c4adb, v48 :: v_dual_mul_f32 v82, 0xbf4c4adb, v47
	v_dual_mul_f32 v83, 0x3e3c28d5, v48 :: v_dual_mul_f32 v84, 0x3e3c28d5, v47
	v_dual_mul_f32 v85, 0x3f763a35, v48 :: v_dual_mul_f32 v86, 0x3f763a35, v47
	v_dual_mul_f32 v87, 0x3f2c7751, v48 :: v_dual_mul_f32 v88, 0x3f2c7751, v47
	v_dual_mul_f32 v92, 0xbf7ee86f, v47 :: v_dual_mul_f32 v93, 0xbf7ee86f, v52
	v_dual_mul_f32 v48, 0xbf06c442, v48 :: v_dual_mul_f32 v139, 0xbf06c442, v51
	v_dual_mul_f32 v132, 0x3f763a35, v52 :: v_dual_mul_f32 v133, 0x3f763a35, v51
	v_dual_mul_f32 v140, 0x3f4c4adb, v52 :: v_dual_mul_f32 v141, 0x3f4c4adb, v51
	v_fma_f32 v54, 0x3f3d2fb0, v39, -v54
	v_dual_fmamk_f32 v147, v39, 0x3ee437d1, v56 :: v_dual_add_f32 v36, v24, v36
	v_fmac_f32_e32 v55, 0x3ee437d1, v38
	v_fma_f32 v56, 0x3ee437d1, v39, -v56
	v_fma_f32 v148, 0x3dbcf732, v38, -v57
	v_dual_fmac_f32 v57, 0x3dbcf732, v38 :: v_dual_add_f32 v144, v24, v144
	v_mul_f32_e32 v90, 0xbeb8f4ab, v47
	v_mul_f32_e32 v47, 0xbf06c442, v47
	v_fma_f32 v150, 0xbe8c1d8e, v38, -v59
	s_delay_alu instid0(VALU_DEP_4)
	v_add_f32_e32 v57, v24, v57
	v_fmac_f32_e32 v59, 0xbe8c1d8e, v38
	v_fma_f32 v152, 0xbf1a4643, v38, -v61
	v_fmac_f32_e32 v61, 0xbf1a4643, v38
	v_fma_f32 v154, 0xbf59a7d5, v38, -v63
	v_dual_fmamk_f32 v155, v39, 0xbf59a7d5, v64 :: v_dual_add_f32 v148, v24, v148
	v_fmac_f32_e32 v63, 0xbf59a7d5, v38
	v_fma_f32 v64, 0xbf59a7d5, v39, -v64
	v_fma_f32 v156, 0xbf7ba420, v38, -v27
	v_dual_fmamk_f32 v157, v39, 0xbf7ba420, v40 :: v_dual_add_f32 v58, v25, v58
	v_fma_f32 v158, 0x3dbcf732, v41, -v67
	v_dual_fmamk_f32 v159, v42, 0x3dbcf732, v68 :: v_dual_add_f32 v152, v24, v152
	s_delay_alu instid0(VALU_DEP_4)
	v_dual_fmamk_f32 v163, v42, 0xbf7ba420, v72 :: v_dual_add_f32 v156, v24, v156
	v_fma_f32 v72, 0xbf7ba420, v42, -v72
	v_add_f32_e32 v37, v25, v37
	v_dual_fmamk_f32 v151, v39, 0xbe8c1d8e, v60 :: v_dual_add_f32 v54, v25, v54
	v_fma_f32 v60, 0xbe8c1d8e, v39, -v60
	v_fmac_f32_e32 v27, 0xbf7ba420, v38
	v_fma_f32 v38, 0xbf7ba420, v39, -v40
	v_add_f32_e32 v143, v25, v143
	v_dual_fmamk_f32 v153, v39, 0xbf1a4643, v62 :: v_dual_add_f32 v56, v25, v56
	v_fma_f32 v62, 0xbf1a4643, v39, -v62
	v_fma_f32 v39, 0x3f3d2fb0, v41, -v65
	v_dual_fmac_f32 v65, 0x3f3d2fb0, v41 :: v_dual_add_f32 v150, v24, v150
	v_dual_add_f32 v53, v24, v53 :: v_dual_fmamk_f32 v40, v42, 0x3f3d2fb0, v66
	v_dual_add_f32 v13, v33, v13 :: v_dual_add_f32 v12, v12, v6
	v_dual_mul_f32 v94, 0xbf7ee86f, v51 :: v_dual_add_f32 v153, v25, v153
	v_dual_mul_f32 v134, 0x3eb8f4ab, v52 :: v_dual_add_f32 v147, v25, v147
	v_dual_mul_f32 v136, 0xbf65296c, v52 :: v_dual_add_f32 v55, v24, v55
	v_fma_f32 v66, 0x3f3d2fb0, v42, -v66
	v_dual_fmac_f32 v67, 0x3dbcf732, v41 :: v_dual_add_f32 v62, v25, v62
	v_fma_f32 v68, 0x3dbcf732, v42, -v68
	v_fma_f32 v160, 0xbf1a4643, v41, -v69
	v_dual_fmamk_f32 v161, v42, 0xbf1a4643, v70 :: v_dual_add_f32 v154, v24, v154
	v_dual_fmac_f32 v69, 0xbf1a4643, v41 :: v_dual_add_f32 v64, v25, v64
	v_fma_f32 v70, 0xbf1a4643, v42, -v70
	v_fma_f32 v162, 0xbf7ba420, v41, -v71
	;; [unrolled: 1-line block ×3, first 2 shown]
	v_dual_fmac_f32 v73, 0xbf59a7d5, v41 :: v_dual_add_f32 v32, v40, v35
	v_fma_f32 v166, 0xbe8c1d8e, v41, -v75
	v_fmamk_f32 v167, v42, 0xbe8c1d8e, v76
	v_fmac_f32_e32 v75, 0xbe8c1d8e, v41
	v_fma_f32 v76, 0xbe8c1d8e, v42, -v76
	v_dual_fmamk_f32 v169, v42, 0x3ee437d1, v78 :: v_dual_add_f32 v40, v161, v147
	v_fma_f32 v78, 0x3ee437d1, v42, -v78
	v_fma_f32 v170, 0x3f6eb680, v41, -v44
	v_dual_fmamk_f32 v171, v42, 0x3f6eb680, v43 :: v_dual_fmac_f32 v44, 0x3f6eb680, v41
	v_dual_fmamk_f32 v173, v46, 0xbf1a4643, v82 :: v_dual_add_f32 v58, v72, v58
	v_dual_fmamk_f32 v177, v46, 0xbe8c1d8e, v86 :: v_dual_add_f32 v62, v76, v62
	v_fma_f32 v86, 0xbe8c1d8e, v46, -v86
	v_fma_f32 v184, 0xbf59a7d5, v45, -v48
	v_fmac_f32_e32 v48, 0xbf59a7d5, v45
	v_fma_f32 v188, 0xbe8c1d8e, v49, -v132
	v_fmac_f32_e32 v132, 0xbe8c1d8e, v49
	v_fma_f32 v196, 0xbf1a4643, v49, -v140
	v_dual_fmac_f32 v140, 0xbf1a4643, v49 :: v_dual_add_f32 v59, v24, v59
	v_dual_add_f32 v60, v25, v60 :: v_dual_fmac_f32 v71, 0xbf7ba420, v41
	v_fma_f32 v41, 0x3f6eb680, v42, -v43
	v_fmamk_f32 v43, v46, 0x3ee437d1, v80
	v_add_f32_e32 v61, v24, v61
	v_add_f32_e32 v63, v24, v63
	v_dual_add_f32 v24, v24, v27 :: v_dual_add_f32 v33, v65, v36
	v_dual_add_f32 v35, v158, v142 :: v_dual_add_f32 v12, v12, v0
	v_add_f32_e32 v36, v159, v143
	v_dual_mul_f32 v138, 0xbf06c442, v52 :: v_dual_add_f32 v151, v25, v151
	v_fma_f32 v74, 0xbf59a7d5, v42, -v74
	v_fma_f32 v42, 0x3ee437d1, v45, -v79
	v_fmac_f32_e32 v79, 0x3ee437d1, v45
	v_fma_f32 v178, 0x3f3d2fb0, v45, -v87
	v_dual_fmac_f32 v87, 0x3f3d2fb0, v45 :: v_dual_add_f32 v64, v78, v64
	v_dual_fmamk_f32 v181, v46, 0x3f6eb680, v90 :: v_dual_add_f32 v24, v44, v24
	v_fma_f32 v90, 0x3f6eb680, v46, -v90
	v_dual_fmamk_f32 v185, v50, 0x3dbcf732, v94 :: v_dual_add_f32 v36, v173, v36
	v_add_f32_e32 v155, v25, v155
	v_add_f32_e32 v157, v25, v157
	v_dual_add_f32 v25, v25, v38 :: v_dual_add_f32 v24, v48, v24
	v_add_f32_e32 v38, v68, v54
	v_add_f32_e32 v54, v70, v56
	v_dual_add_f32 v56, v163, v149 :: v_dual_fmamk_f32 v183, v46, 0x3dbcf732, v92
	v_add_f32_e32 v32, v43, v32
	v_dual_add_f32 v27, v39, v34 :: v_dual_add_f32 v34, v66, v37
	v_dual_add_f32 v37, v67, v53 :: v_dual_add_f32 v12, v12, v2
	v_add_f32_e32 v53, v69, v55
	v_dual_fmamk_f32 v175, v46, 0xbf7ba420, v84 :: v_dual_add_f32 v68, v167, v153
	v_fma_f32 v84, 0xbf7ba420, v46, -v84
	s_delay_alu instid0(VALU_DEP_4)
	v_add_f32_e32 v12, v12, v8
	v_fma_f32 v92, 0x3dbcf732, v46, -v92
	v_add_f32_e32 v59, v73, v59
	v_fma_f32 v172, 0xbf1a4643, v45, -v81
	v_dual_fmac_f32 v81, 0xbf1a4643, v45 :: v_dual_add_f32 v66, v165, v151
	v_add_f32_e32 v12, v12, v10
	v_fma_f32 v174, 0xbf7ba420, v45, -v83
	v_dual_fmac_f32 v83, 0xbf7ba420, v45 :: v_dual_add_f32 v60, v74, v60
	v_fma_f32 v176, 0xbe8c1d8e, v45, -v85
	v_fma_f32 v186, 0xbf7ba420, v49, -v95
	v_dual_fmamk_f32 v187, v50, 0xbf7ba420, v131 :: v_dual_add_f32 v40, v175, v40
	v_fmac_f32_e32 v95, 0xbf7ba420, v49
	v_dual_add_f32 v13, v13, v15 :: v_dual_add_f32 v62, v90, v62
	s_delay_alu instid0(VALU_DEP_3)
	v_dual_add_f32 v36, v187, v36 :: v_dual_fmac_f32 v85, 0xbe8c1d8e, v45
	v_add_f32_e32 v70, v169, v155
	v_dual_add_f32 v64, v92, v64 :: v_dual_fmamk_f32 v179, v46, 0x3f3d2fb0, v88
	v_add_f32_e32 v72, v171, v157
	v_fma_f32 v88, 0x3f3d2fb0, v46, -v88
	v_dual_fmamk_f32 v195, v50, 0xbf59a7d5, v139 :: v_dual_add_f32 v32, v185, v32
	v_dual_add_f32 v27, v42, v27 :: v_dual_add_f32 v42, v84, v54
	v_dual_add_f32 v54, v86, v58 :: v_dual_add_f32 v61, v75, v61
	v_add_f32_e32 v12, v12, v16
	v_fma_f32 v80, 0x3ee437d1, v46, -v80
	v_dual_fmamk_f32 v189, v50, 0xbe8c1d8e, v133 :: v_dual_add_f32 v44, v177, v56
	v_dual_fmamk_f32 v193, v50, 0x3ee437d1, v137 :: v_dual_add_f32 v56, v179, v66
	v_dual_add_f32 v66, v183, v70 :: v_dual_add_f32 v63, v77, v63
	v_dual_add_f32 v12, v12, v18 :: v_dual_add_f32 v13, v13, v5
	v_dual_mul_f32 v52, 0x3f2c7751, v52 :: v_dual_mul_f32 v51, 0x3f2c7751, v51
	v_fma_f32 v82, 0xbf1a4643, v46, -v82
	v_fma_f32 v182, 0x3dbcf732, v45, -v91
	v_dual_fmac_f32 v91, 0x3dbcf732, v45 :: v_dual_add_f32 v34, v80, v34
	v_fmamk_f32 v45, v46, 0xbf59a7d5, v47
	v_fma_f32 v46, 0xbf59a7d5, v46, -v47
	v_fma_f32 v47, 0x3dbcf732, v49, -v93
	;; [unrolled: 1-line block ×5, first 2 shown]
	v_dual_fmamk_f32 v191, v50, 0x3f6eb680, v135 :: v_dual_fmac_f32 v134, 0x3f6eb680, v49
	v_fma_f32 v135, 0x3f6eb680, v50, -v135
	v_fmamk_f32 v197, v50, 0xbf1a4643, v141
	v_dual_add_f32 v55, v162, v148 :: v_dual_add_f32 v42, v133, v42
	v_dual_add_f32 v57, v71, v57 :: v_dual_add_f32 v40, v189, v40
	;; [unrolled: 1-line block ×3, first 2 shown]
	v_add_f32_e32 v58, v88, v60
	v_add_f32_e32 v60, v181, v68
	v_dual_add_f32 v12, v12, v20 :: v_dual_add_f32 v13, v13, v7
	v_fma_f32 v192, 0x3ee437d1, v49, -v136
	v_fma_f32 v194, 0xbf59a7d5, v49, -v138
	;; [unrolled: 1-line block ×3, first 2 shown]
	v_add_f32_e32 v25, v41, v25
	v_dual_add_f32 v43, v176, v55 :: v_dual_add_f32 v34, v94, v34
	v_dual_add_f32 v33, v79, v33 :: v_dual_add_f32 v12, v12, v22
	v_add_f32_e32 v41, v83, v53
	v_add_f32_e32 v53, v85, v57
	v_dual_add_f32 v57, v87, v59 :: v_dual_fmac_f32 v52, 0x3f3d2fb0, v49
	v_dual_add_f32 v55, v178, v65 :: v_dual_add_f32 v20, v195, v60
	v_add_f32_e32 v27, v47, v27
	v_add_f32_e32 v47, v135, v54
	s_delay_alu instid0(VALU_DEP_4) | instskip(NEXT) | instid1(VALU_DEP_4)
	v_dual_add_f32 v13, v13, v1 :: v_dual_add_f32 v24, v52, v24
	v_dual_add_f32 v67, v166, v152 :: v_dual_add_f32 v48, v192, v55
	v_fma_f32 v139, 0xbf59a7d5, v50, -v139
	s_delay_alu instid0(VALU_DEP_3) | instskip(SKIP_2) | instid1(VALU_DEP_4)
	v_add_f32_e32 v13, v13, v3
	v_fma_f32 v137, 0x3ee437d1, v50, -v137
	v_fma_f32 v141, 0xbf1a4643, v50, -v141
	v_dual_fmac_f32 v136, 0x3ee437d1, v49 :: v_dual_add_f32 v55, v139, v62
	s_delay_alu instid0(VALU_DEP_4)
	v_add_f32_e32 v13, v13, v9
	v_add_f32_e32 v35, v172, v35
	;; [unrolled: 1-line block ×4, first 2 shown]
	v_fma_f32 v131, 0xbf7ba420, v50, -v131
	v_add_f32_e32 v13, v13, v11
	v_dual_add_f32 v71, v170, v156 :: v_dual_add_f32 v18, v136, v57
	v_fmamk_f32 v57, v50, 0x3f3d2fb0, v51
	v_dual_fmac_f32 v93, 0x3dbcf732, v49 :: v_dual_add_f32 v38, v82, v38
	s_delay_alu instid0(VALU_DEP_4) | instskip(SKIP_1) | instid1(VALU_DEP_2)
	v_add_f32_e32 v13, v13, v17
	v_dual_fmac_f32 v138, 0xbf59a7d5, v49 :: v_dual_add_f32 v39, v160, v144
                                        ; implicit-def: $vgpr70
                                        ; implicit-def: $vgpr74
                                        ; implicit-def: $vgpr78
                                        ; implicit-def: $vgpr76
	v_dual_add_f32 v38, v131, v38 :: v_dual_add_f32 v13, v13, v19
	v_add_f32_e32 v19, v137, v58
	v_add_f32_e32 v58, v16, v14
	v_dual_sub_f32 v14, v14, v16 :: v_dual_add_f32 v59, v180, v67
	v_fma_f32 v16, 0x3f3d2fb0, v50, -v51
	v_add_f32_e32 v69, v168, v154
	v_mul_f32_e32 v51, 0x3f2c7751, v26
	s_delay_alu instid0(VALU_DEP_4)
	v_mul_f32_e32 v50, 0x3f06c442, v14
	v_add_f32_e32 v54, v194, v59
	v_add_f32_e32 v25, v46, v25
	;; [unrolled: 1-line block ×3, first 2 shown]
	v_mul_f32_e32 v59, 0xbf763a35, v26
	v_dual_mul_f32 v49, 0xbf763a35, v14 :: v_dual_add_f32 v46, v134, v53
	s_delay_alu instid0(VALU_DEP_4) | instskip(NEXT) | instid1(VALU_DEP_3)
	v_dual_add_f32 v16, v16, v25 :: v_dual_add_f32 v15, v17, v15
	v_fma_f32 v17, 0xbe8c1d8e, v58, -v59
	v_add_f32_e32 v37, v81, v37
	v_add_f32_e32 v41, v132, v41
	;; [unrolled: 1-line block ×3, first 2 shown]
	v_fmamk_f32 v25, v15, 0xbe8c1d8e, v49
	v_fma_f32 v49, 0xbe8c1d8e, v15, -v49
	v_add_f32_e32 v65, v182, v69
	v_add_f32_e32 v17, v17, v27
	v_dual_mul_f32 v27, 0x3f06c442, v26 :: v_dual_add_f32 v56, v140, v63
	s_delay_alu instid0(VALU_DEP_4) | instskip(NEXT) | instid1(VALU_DEP_4)
	v_dual_add_f32 v34, v49, v34 :: v_dual_fmamk_f32 v49, v15, 0xbf59a7d5, v50
	v_dual_add_f32 v39, v174, v39 :: v_dual_add_f32 v22, v196, v65
	v_add_f32_e32 v67, v184, v71
	v_add_f32_e32 v37, v95, v37
	;; [unrolled: 1-line block ×3, first 2 shown]
	v_fma_f32 v32, 0xbf59a7d5, v58, -v27
	v_dual_fmac_f32 v27, 0xbf59a7d5, v58 :: v_dual_add_f32 v36, v49, v36
	v_fma_f32 v49, 0x3f3d2fb0, v58, -v51
	v_fmac_f32_e32 v51, 0x3f3d2fb0, v58
	v_add_f32_e32 v35, v186, v35
	v_add_f32_e32 v61, v89, v61
	;; [unrolled: 1-line block ×4, first 2 shown]
	s_delay_alu instid0(VALU_DEP_4) | instskip(SKIP_4) | instid1(VALU_DEP_4)
	v_dual_add_f32 v27, v27, v37 :: v_dual_add_f32 v32, v32, v35
	v_fma_f32 v35, 0xbf59a7d5, v15, -v50
	v_mul_f32_e32 v50, 0x3f2c7751, v14
	v_mul_f32_e32 v37, 0xbf65296c, v26
	v_dual_add_f32 v43, v190, v43 :: v_dual_mul_f32 v52, 0xbf65296c, v14
	v_dual_add_f32 v35, v35, v38 :: v_dual_add_f32 v38, v49, v39
	s_delay_alu instid0(VALU_DEP_4)
	v_fmamk_f32 v39, v15, 0x3f3d2fb0, v50
	v_fma_f32 v49, 0x3f3d2fb0, v15, -v50
	v_fma_f32 v50, 0x3ee437d1, v58, -v37
	v_add_f32_e32 v33, v93, v33
	v_fmac_f32_e32 v37, 0x3ee437d1, v58
	v_add_f32_e32 v39, v39, v40
	v_dual_add_f32 v40, v51, v41 :: v_dual_add_f32 v41, v49, v42
	v_dual_add_f32 v42, v50, v43 :: v_dual_fmamk_f32 v43, v15, 0x3ee437d1, v52
	v_mul_f32_e32 v49, 0xbe3c28d5, v26
	v_fma_f32 v50, 0x3ee437d1, v15, -v52
	v_mul_f32_e32 v51, 0xbe3c28d5, v14
	v_add_f32_e32 v37, v37, v46
	v_add_f32_e32 v43, v43, v44
	v_fma_f32 v44, 0xbf7ba420, v58, -v49
	v_add_f32_e32 v46, v50, v47
	v_mul_f32_e32 v50, 0x3f7ee86f, v26
	v_fmamk_f32 v47, v15, 0xbf7ba420, v51
	s_delay_alu instid0(VALU_DEP_4) | instskip(SKIP_1) | instid1(VALU_DEP_4)
	v_dual_fmac_f32 v49, 0xbf7ba420, v58 :: v_dual_add_f32 v44, v44, v48
	v_fma_f32 v48, 0xbf7ba420, v15, -v51
	v_fma_f32 v51, 0x3dbcf732, v58, -v50
	v_mul_f32_e32 v52, 0x3f7ee86f, v14
	s_delay_alu instid0(VALU_DEP_4)
	v_add_f32_e32 v18, v49, v18
	v_fmac_f32_e32 v50, 0x3dbcf732, v58
	v_add_co_u32 v72, s2, s8, v145
	v_add_f32_e32 v49, v51, v54
	v_fmamk_f32 v51, v15, 0x3dbcf732, v52
	v_fma_f32 v52, 0x3dbcf732, v15, -v52
	v_mul_f32_e32 v54, 0xbeb8f4ab, v14
	v_dual_mul_f32 v14, 0xbf4c4adb, v14 :: v_dual_add_f32 v13, v13, v21
	s_delay_alu instid0(VALU_DEP_4) | instskip(SKIP_2) | instid1(VALU_DEP_2)
	v_dual_add_f32 v21, v138, v61 :: v_dual_add_f32 v20, v51, v20
	s_wait_alu 0xf1ff
	v_add_co_ci_u32_e64 v73, null, s9, 0, s2
	v_dual_add_f32 v21, v50, v21 :: v_dual_add_f32 v50, v52, v55
	v_fma_f32 v52, 0x3f6eb680, v15, -v54
	s_delay_alu instid0(VALU_DEP_1) | instskip(SKIP_4) | instid1(VALU_DEP_3)
	v_add_f32_e32 v28, v52, v28
	v_sub_f32_e32 v52, v5, v11
	v_dual_add_f32 v19, v48, v19 :: v_dual_mul_f32 v48, 0xbeb8f4ab, v26
	v_dual_mul_f32 v26, 0xbf4c4adb, v26 :: v_dual_add_f32 v47, v47, v53
	v_add_f32_e32 v5, v11, v5
	v_fma_f32 v53, 0x3f6eb680, v58, -v48
	v_dual_fmac_f32 v48, 0x3f6eb680, v58 :: v_dual_add_f32 v13, v13, v23
	v_add_f32_e32 v23, v197, v66
	s_delay_alu instid0(VALU_DEP_3) | instskip(SKIP_1) | instid1(VALU_DEP_4)
	v_dual_add_f32 v22, v53, v22 :: v_dual_fmamk_f32 v53, v15, 0xbf1a4643, v14
	v_fma_f32 v14, 0xbf1a4643, v15, -v14
	v_add_f32_e32 v13, v13, v29
	v_dual_add_f32 v29, v198, v67 :: v_dual_add_f32 v48, v48, v56
	s_delay_alu instid0(VALU_DEP_3) | instskip(SKIP_2) | instid1(VALU_DEP_1)
	v_add_f32_e32 v14, v14, v16
	v_mul_f32_e32 v16, 0x3f763a35, v52
	v_fmamk_f32 v51, v15, 0x3f6eb680, v54
	v_add_f32_e32 v23, v51, v23
	v_fma_f32 v51, 0xbf1a4643, v58, -v26
	s_delay_alu instid0(VALU_DEP_1) | instskip(SKIP_2) | instid1(VALU_DEP_3)
	v_dual_fmac_f32 v26, 0xbf1a4643, v58 :: v_dual_add_f32 v29, v51, v29
	v_dual_add_f32 v51, v10, v4 :: v_dual_sub_f32 v4, v4, v10
	v_mul_f32_e32 v10, 0xbf4c4adb, v52
	v_add_f32_e32 v24, v26, v24
	s_delay_alu instid0(VALU_DEP_3) | instskip(NEXT) | instid1(VALU_DEP_3)
	v_mul_f32_e32 v11, 0xbf4c4adb, v4
	v_fma_f32 v15, 0xbf1a4643, v51, -v10
	v_fmac_f32_e32 v10, 0xbf1a4643, v51
	s_delay_alu instid0(VALU_DEP_3) | instskip(SKIP_1) | instid1(VALU_DEP_2)
	v_fmamk_f32 v26, v5, 0xbf1a4643, v11
	v_fma_f32 v11, 0xbf1a4643, v5, -v11
	v_dual_add_f32 v25, v26, v25 :: v_dual_mul_f32 v26, 0x3f763a35, v4
	v_add_f32_e32 v15, v15, v17
	v_fma_f32 v17, 0xbe8c1d8e, v51, -v16
	s_delay_alu instid0(VALU_DEP_4) | instskip(SKIP_1) | instid1(VALU_DEP_3)
	v_dual_fmac_f32 v16, 0xbe8c1d8e, v51 :: v_dual_add_f32 v11, v11, v34
	v_mul_f32_e32 v34, 0xbeb8f4ab, v4
	v_add_f32_e32 v17, v17, v32
	v_mul_f32_e32 v32, 0xbeb8f4ab, v52
	s_delay_alu instid0(VALU_DEP_4) | instskip(NEXT) | instid1(VALU_DEP_4)
	v_dual_add_f32 v16, v16, v27 :: v_dual_add_f32 v45, v57, v45
	v_fmamk_f32 v27, v5, 0x3f6eb680, v34
	v_fma_f32 v34, 0x3f6eb680, v5, -v34
	s_delay_alu instid0(VALU_DEP_3) | instskip(SKIP_3) | instid1(VALU_DEP_2)
	v_add_f32_e32 v45, v53, v45
	v_fma_f32 v53, 0x3f6eb680, v51, -v32
	v_fmac_f32_e32 v32, 0x3f6eb680, v51
	v_fmac_f32_e32 v59, 0xbe8c1d8e, v58
	v_dual_add_f32 v27, v27, v39 :: v_dual_add_f32 v32, v32, v40
	s_delay_alu instid0(VALU_DEP_2) | instskip(NEXT) | instid1(VALU_DEP_1)
	v_dual_add_f32 v33, v59, v33 :: v_dual_mul_f32 v40, 0x3f7ee86f, v52
	v_dual_add_f32 v10, v10, v33 :: v_dual_fmamk_f32 v33, v5, 0xbe8c1d8e, v26
	v_fma_f32 v26, 0xbe8c1d8e, v5, -v26
	s_delay_alu instid0(VALU_DEP_1) | instskip(SKIP_3) | instid1(VALU_DEP_3)
	v_dual_add_f32 v33, v33, v36 :: v_dual_add_f32 v26, v26, v35
	v_dual_add_f32 v35, v53, v38 :: v_dual_mul_f32 v36, 0xbf06c442, v52
	v_mul_f32_e32 v38, 0xbf06c442, v4
	v_add_f32_e32 v34, v34, v41
	v_fma_f32 v39, 0xbf59a7d5, v51, -v36
	s_delay_alu instid0(VALU_DEP_3) | instskip(SKIP_2) | instid1(VALU_DEP_4)
	v_fmamk_f32 v41, v5, 0xbf59a7d5, v38
	v_fmac_f32_e32 v36, 0xbf59a7d5, v51
	v_fma_f32 v38, 0xbf59a7d5, v5, -v38
	v_add_f32_e32 v39, v39, v42
	v_fma_f32 v42, 0x3dbcf732, v51, -v40
	s_delay_alu instid0(VALU_DEP_3)
	v_dual_add_f32 v36, v36, v37 :: v_dual_add_f32 v37, v38, v46
	v_fmac_f32_e32 v40, 0x3dbcf732, v51
	v_dual_mul_f32 v46, 0xbf2c7751, v4 :: v_dual_add_f32 v41, v41, v43
	v_mul_f32_e32 v43, 0x3f7ee86f, v4
	v_add_f32_e32 v38, v42, v44
	v_mul_f32_e32 v42, 0xbf2c7751, v52
	v_add_f32_e32 v18, v40, v18
	v_fmamk_f32 v40, v5, 0x3f3d2fb0, v46
	v_fmamk_f32 v44, v5, 0x3dbcf732, v43
	v_fma_f32 v46, 0x3f3d2fb0, v5, -v46
	v_fma_f32 v53, 0x3f3d2fb0, v51, -v42
	v_fmac_f32_e32 v42, 0x3f3d2fb0, v51
	v_add_f32_e32 v20, v40, v20
	v_mul_f32_e32 v40, 0xbe3c28d5, v4
	v_fma_f32 v43, 0x3dbcf732, v5, -v43
	v_dual_add_f32 v44, v44, v47 :: v_dual_mul_f32 v47, 0xbe3c28d5, v52
	v_add_f32_e32 v21, v42, v21
	v_add_f32_e32 v42, v46, v50
	v_fmamk_f32 v50, v5, 0xbf7ba420, v40
	v_fma_f32 v40, 0xbf7ba420, v5, -v40
	v_dual_add_f32 v19, v43, v19 :: v_dual_mul_f32 v46, 0x3f65296c, v52
	v_mul_f32_e32 v4, 0x3f65296c, v4
	s_delay_alu instid0(VALU_DEP_3) | instskip(SKIP_3) | instid1(VALU_DEP_1)
	v_add_f32_e32 v28, v40, v28
	v_sub_f32_e32 v40, v7, v9
	v_add_f32_e32 v43, v53, v49
	v_fma_f32 v49, 0xbf7ba420, v51, -v47
	v_dual_fmac_f32 v47, 0xbf7ba420, v51 :: v_dual_add_f32 v22, v49, v22
	v_fma_f32 v49, 0x3ee437d1, v51, -v46
	s_delay_alu instid0(VALU_DEP_2) | instskip(NEXT) | instid1(VALU_DEP_2)
	v_dual_add_f32 v47, v47, v48 :: v_dual_fmac_f32 v46, 0x3ee437d1, v51
	v_add_f32_e32 v29, v49, v29
	v_dual_sub_f32 v49, v6, v8 :: v_dual_add_f32 v6, v8, v6
	v_mul_f32_e32 v8, 0xbf06c442, v40
	v_fmamk_f32 v48, v5, 0x3ee437d1, v4
	v_fma_f32 v4, 0x3ee437d1, v5, -v4
	v_add_f32_e32 v5, v9, v7
	v_dual_mul_f32 v7, 0xbf06c442, v49 :: v_dual_add_f32 v24, v46, v24
	s_delay_alu instid0(VALU_DEP_4) | instskip(SKIP_2) | instid1(VALU_DEP_4)
	v_add_f32_e32 v9, v48, v45
	v_fma_f32 v45, 0xbf59a7d5, v6, -v8
	v_add_f32_e32 v4, v4, v14
	v_fmamk_f32 v14, v5, 0xbf59a7d5, v7
	v_mul_f32_e32 v46, 0x3f65296c, v40
	s_delay_alu instid0(VALU_DEP_4) | instskip(SKIP_1) | instid1(VALU_DEP_4)
	v_dual_fmac_f32 v8, 0xbf59a7d5, v6 :: v_dual_add_f32 v15, v45, v15
	v_fma_f32 v7, 0xbf59a7d5, v5, -v7
	v_add_f32_e32 v14, v14, v25
	s_delay_alu instid0(VALU_DEP_4) | instskip(NEXT) | instid1(VALU_DEP_4)
	v_fma_f32 v25, 0x3ee437d1, v6, -v46
	v_dual_mul_f32 v45, 0x3f65296c, v49 :: v_dual_add_f32 v8, v8, v10
	s_delay_alu instid0(VALU_DEP_4) | instskip(NEXT) | instid1(VALU_DEP_3)
	v_dual_mul_f32 v10, 0xbf7ee86f, v40 :: v_dual_add_f32 v7, v7, v11
	v_add_f32_e32 v11, v25, v17
	s_delay_alu instid0(VALU_DEP_3) | instskip(SKIP_1) | instid1(VALU_DEP_4)
	v_dual_fmamk_f32 v17, v5, 0x3ee437d1, v45 :: v_dual_fmac_f32 v46, 0x3ee437d1, v6
	v_fma_f32 v25, 0x3ee437d1, v5, -v45
	v_fma_f32 v45, 0x3dbcf732, v6, -v10
	v_mul_f32_e32 v48, 0xbf7ee86f, v49
	v_fmac_f32_e32 v10, 0x3dbcf732, v6
	s_delay_alu instid0(VALU_DEP_4) | instskip(NEXT) | instid1(VALU_DEP_4)
	v_dual_add_f32 v16, v46, v16 :: v_dual_add_f32 v25, v25, v26
	v_add_f32_e32 v26, v45, v35
	s_delay_alu instid0(VALU_DEP_4)
	v_fma_f32 v45, 0x3dbcf732, v5, -v48
	v_mul_f32_e32 v46, 0x3f4c4adb, v49
	v_add_f32_e32 v17, v17, v33
	v_fmamk_f32 v33, v5, 0x3dbcf732, v48
	v_mul_f32_e32 v35, 0x3f4c4adb, v40
	v_add_f32_e32 v10, v10, v32
	v_add_f32_e32 v32, v45, v34
	v_fmamk_f32 v34, v5, 0xbf1a4643, v46
	v_mul_f32_e32 v45, 0xbeb8f4ab, v40
	v_add_f32_e32 v27, v33, v27
	v_fma_f32 v33, 0xbf1a4643, v6, -v35
	s_delay_alu instid0(VALU_DEP_4) | instskip(NEXT) | instid1(VALU_DEP_4)
	v_dual_fmac_f32 v35, 0xbf1a4643, v6 :: v_dual_add_f32 v34, v34, v41
	v_fma_f32 v41, 0x3f6eb680, v6, -v45
	v_fmac_f32_e32 v45, 0x3f6eb680, v6
	s_delay_alu instid0(VALU_DEP_4) | instskip(NEXT) | instid1(VALU_DEP_3)
	v_add_f32_e32 v33, v33, v39
	v_add_f32_e32 v38, v41, v38
	s_delay_alu instid0(VALU_DEP_3) | instskip(SKIP_4) | instid1(VALU_DEP_4)
	v_add_f32_e32 v18, v45, v18
	v_mul_f32_e32 v48, 0xbe3c28d5, v49
	v_fma_f32 v39, 0xbf1a4643, v5, -v46
	v_dual_add_f32 v23, v50, v23 :: v_dual_mul_f32 v46, 0xbeb8f4ab, v49
	v_add_f32_e32 v35, v35, v36
	v_fma_f32 v45, 0xbf7ba420, v5, -v48
	s_delay_alu instid0(VALU_DEP_4) | instskip(NEXT) | instid1(VALU_DEP_4)
	v_dual_add_f32 v36, v39, v37 :: v_dual_mul_f32 v37, 0xbe3c28d5, v40
	v_fmamk_f32 v39, v5, 0x3f6eb680, v46
	v_fma_f32 v41, 0x3f6eb680, v5, -v46
	s_delay_alu instid0(VALU_DEP_3) | instskip(NEXT) | instid1(VALU_DEP_3)
	v_fma_f32 v46, 0xbf7ba420, v6, -v37
	v_add_f32_e32 v39, v39, v44
	s_delay_alu instid0(VALU_DEP_3) | instskip(SKIP_1) | instid1(VALU_DEP_4)
	v_dual_add_f32 v19, v41, v19 :: v_dual_mul_f32 v44, 0x3f2c7751, v40
	v_fmac_f32_e32 v37, 0xbf7ba420, v6
	v_dual_add_f32 v41, v46, v43 :: v_dual_mul_f32 v46, 0x3f2c7751, v49
	s_delay_alu instid0(VALU_DEP_2) | instskip(SKIP_1) | instid1(VALU_DEP_3)
	v_dual_mul_f32 v40, 0xbf763a35, v40 :: v_dual_add_f32 v21, v37, v21
	v_add_f32_e32 v37, v45, v42
	v_fmamk_f32 v42, v5, 0x3f3d2fb0, v46
	v_mul_f32_e32 v45, 0xbf763a35, v49
	s_delay_alu instid0(VALU_DEP_2) | instskip(SKIP_2) | instid1(VALU_DEP_1)
	v_add_f32_e32 v23, v42, v23
	v_fma_f32 v42, 0xbe8c1d8e, v6, -v40
	v_fmac_f32_e32 v40, 0xbe8c1d8e, v6
	v_dual_add_f32 v40, v40, v24 :: v_dual_fmamk_f32 v43, v5, 0xbf7ba420, v48
	s_delay_alu instid0(VALU_DEP_1) | instskip(SKIP_2) | instid1(VALU_DEP_2)
	v_add_f32_e32 v20, v43, v20
	v_fma_f32 v43, 0x3f3d2fb0, v6, -v44
	v_fmac_f32_e32 v44, 0x3f3d2fb0, v6
	v_add_f32_e32 v22, v43, v22
	v_fma_f32 v43, 0x3f3d2fb0, v5, -v46
	s_delay_alu instid0(VALU_DEP_3) | instskip(SKIP_1) | instid1(VALU_DEP_3)
	v_add_f32_e32 v44, v44, v47
	v_add_f32_e32 v46, v2, v0
	v_dual_add_f32 v28, v43, v28 :: v_dual_sub_f32 v43, v1, v3
	v_sub_f32_e32 v47, v0, v2
	v_dual_add_f32 v29, v42, v29 :: v_dual_fmamk_f32 v42, v5, 0xbe8c1d8e, v45
	v_fma_f32 v0, 0xbe8c1d8e, v5, -v45
	s_delay_alu instid0(VALU_DEP_4) | instskip(NEXT) | instid1(VALU_DEP_3)
	v_dual_mul_f32 v2, 0xbe3c28d5, v43 :: v_dual_add_f32 v45, v3, v1
	v_dual_mul_f32 v1, 0xbe3c28d5, v47 :: v_dual_add_f32 v42, v42, v9
	s_delay_alu instid0(VALU_DEP_3) | instskip(NEXT) | instid1(VALU_DEP_3)
	v_add_f32_e32 v48, v0, v4
	v_fma_f32 v3, 0xbf7ba420, v46, -v2
	v_fmac_f32_e32 v2, 0xbf7ba420, v46
	s_delay_alu instid0(VALU_DEP_4) | instskip(NEXT) | instid1(VALU_DEP_3)
	v_fmamk_f32 v4, v45, 0xbf7ba420, v1
	v_add_f32_e32 v0, v3, v15
	v_fma_f32 v3, 0xbf7ba420, v45, -v1
	s_delay_alu instid0(VALU_DEP_3) | instskip(SKIP_3) | instid1(VALU_DEP_4)
	v_dual_add_f32 v1, v4, v14 :: v_dual_mul_f32 v14, 0xbf4c4adb, v43
	v_mul_f32_e32 v4, 0x3eb8f4ab, v47
	v_add_f32_e32 v66, v2, v8
	v_mul_f32_e32 v8, 0xbf06c442, v47
	v_fma_f32 v15, 0xbf1a4643, v46, -v14
	v_fmac_f32_e32 v14, 0xbf1a4643, v46
	v_mul_f32_e32 v24, 0x3f65296c, v43
	v_add_f32_e32 v67, v3, v7
	v_fmamk_f32 v3, v45, 0x3f6eb680, v4
	v_fma_f32 v4, 0x3f6eb680, v45, -v4
	v_dual_mul_f32 v9, 0x3f2c7751, v43 :: v_dual_add_f32 v14, v14, v18
	s_delay_alu instid0(VALU_DEP_3)
	v_add_f32_e32 v3, v3, v17
	v_fma_f32 v17, 0x3ee437d1, v46, -v24
	v_mul_f32_e32 v5, 0x3eb8f4ab, v43
	v_fmac_f32_e32 v24, 0x3ee437d1, v46
	v_mul_f32_e32 v7, 0xbf06c442, v43
	v_add_f32_e32 v69, v4, v25
	v_mul_f32_e32 v25, 0x3f65296c, v47
	v_fma_f32 v6, 0x3f6eb680, v46, -v5
	v_dual_fmac_f32 v5, 0x3f6eb680, v46 :: v_dual_add_f32 v18, v24, v21
	s_delay_alu instid0(VALU_DEP_2) | instskip(SKIP_1) | instid1(VALU_DEP_3)
	v_add_f32_e32 v2, v6, v11
	v_fma_f32 v6, 0xbf59a7d5, v46, -v7
	v_add_f32_e32 v68, v5, v16
	v_fmamk_f32 v5, v45, 0xbf59a7d5, v8
	v_fmac_f32_e32 v7, 0xbf59a7d5, v46
	v_fma_f32 v11, 0x3f3d2fb0, v46, -v9
	v_add_f32_e32 v4, v6, v26
	v_fma_f32 v6, 0xbf59a7d5, v45, -v8
	v_mul_f32_e32 v8, 0x3f2c7751, v47
	v_add_f32_e32 v64, v7, v10
	v_fmac_f32_e32 v9, 0x3f3d2fb0, v46
	v_add_f32_e32 v5, v5, v27
	v_dual_add_f32 v65, v6, v32 :: v_dual_add_f32 v6, v11, v33
	v_fma_f32 v10, 0x3f3d2fb0, v45, -v8
	v_mul_f32_e32 v11, 0xbf4c4adb, v47
	v_mul_f32_e32 v27, 0xbf763a35, v47
	v_fmamk_f32 v7, v45, 0x3f3d2fb0, v8
	s_delay_alu instid0(VALU_DEP_4) | instskip(NEXT) | instid1(VALU_DEP_4)
	v_dual_add_f32 v8, v9, v35 :: v_dual_add_f32 v9, v10, v36
	v_fmamk_f32 v16, v45, 0xbf1a4643, v11
	v_add_f32_e32 v10, v15, v38
	v_fma_f32 v15, 0xbf1a4643, v45, -v11
	v_mul_f32_e32 v26, 0xbf763a35, v43
	v_fmamk_f32 v21, v45, 0xbe8c1d8e, v27
	v_fma_f32 v24, 0xbe8c1d8e, v45, -v27
	v_add_f32_e32 v11, v16, v39
	v_dual_add_f32 v15, v15, v19 :: v_dual_add_f32 v16, v17, v41
	v_fmamk_f32 v17, v45, 0x3ee437d1, v25
	v_fma_f32 v19, 0x3ee437d1, v45, -v25
	v_fma_f32 v25, 0xbe8c1d8e, v46, -v26
	v_add_f32_e32 v21, v21, v23
	v_add_f32_e32 v23, v24, v28
	v_mul_lo_u16 v24, v30, 17
	v_add_f32_e32 v17, v17, v20
	v_add_f32_e32 v20, v25, v22
	v_fmac_f32_e32 v26, 0xbe8c1d8e, v46
	v_mul_f32_e32 v27, 0x3f7ee86f, v43
	v_mul_f32_e32 v25, 0x3f7ee86f, v47
	v_and_b32_e32 v33, 0xffff, v24
	s_delay_alu instid0(VALU_DEP_4) | instskip(NEXT) | instid1(VALU_DEP_4)
	v_dual_add_f32 v7, v7, v34 :: v_dual_add_f32 v22, v26, v44
	v_fma_f32 v26, 0x3dbcf732, v46, -v27
	s_delay_alu instid0(VALU_DEP_4) | instskip(SKIP_3) | instid1(VALU_DEP_4)
	v_fmamk_f32 v28, v45, 0x3dbcf732, v25
	v_fmac_f32_e32 v27, 0x3dbcf732, v46
	v_fma_f32 v32, 0x3dbcf732, v45, -v25
	v_lshlrev_b32_e32 v88, 3, v33
	v_dual_add_f32 v24, v26, v29 :: v_dual_add_f32 v25, v28, v42
	s_delay_alu instid0(VALU_DEP_4) | instskip(NEXT) | instid1(VALU_DEP_4)
	v_add_f32_e32 v26, v27, v40
	v_add_f32_e32 v27, v32, v48
	;; [unrolled: 1-line block ×3, first 2 shown]
	ds_store_2addr_b64 v88, v[12:13], v[0:1] offset1:1
	ds_store_2addr_b64 v88, v[2:3], v[4:5] offset0:2 offset1:3
	ds_store_2addr_b64 v88, v[6:7], v[10:11] offset0:4 offset1:5
	;; [unrolled: 1-line block ×7, first 2 shown]
	ds_store_b64 v88, v[66:67] offset:128
	v_add_nc_u32_e32 v2, 0x1800, v145
	v_add_nc_u32_e32 v0, 0x800, v145
	;; [unrolled: 1-line block ×4, first 2 shown]
	global_wb scope:SCOPE_SE
	s_wait_dscnt 0x0
	s_barrier_signal -1
	s_barrier_wait -1
	global_inv scope:SCOPE_SE
	ds_load_2addr_b64 v[40:43], v0 offset0:33 offset1:152
	v_add_nc_u32_e32 v0, 0x3400, v145
	ds_load_2addr_b64 v[36:39], v145 offset1:119
	ds_load_2addr_b64 v[60:63], v1 offset0:66 offset1:185
	ds_load_2addr_b64 v[56:59], v2 offset0:99 offset1:218
	ds_load_2addr_b64 v[52:55], v3 offset0:132 offset1:251
	ds_load_2addr_b64 v[48:51], v31 offset0:37 offset1:156
	ds_load_2addr_b64 v[44:47], v0 offset0:70 offset1:189
	s_and_saveexec_b32 s2, vcc_lo
	s_cbranch_execz .LBB0_3
; %bb.2:
	ds_load_b64 v[64:65], v145 offset:1904
	ds_load_b64 v[68:69], v145 offset:4216
	;; [unrolled: 1-line block ×7, first 2 shown]
.LBB0_3:
	s_wait_alu 0xfffe
	s_or_b32 exec_lo, exec_lo, s2
	v_and_b32_e32 v0, 0xff, v96
	v_add_nc_u16 v1, v96, 0x77
	v_add_nc_u16 v3, v96, 0xee
	s_delay_alu instid0(VALU_DEP_3) | instskip(NEXT) | instid1(VALU_DEP_3)
	v_mul_lo_u16 v0, 0xf1, v0
	v_and_b32_e32 v2, 0xff, v1
	s_delay_alu instid0(VALU_DEP_2) | instskip(NEXT) | instid1(VALU_DEP_1)
	v_lshrrev_b16 v80, 12, v0
	v_mul_lo_u16 v0, v80, 17
	s_delay_alu instid0(VALU_DEP_1) | instskip(NEXT) | instid1(VALU_DEP_1)
	v_sub_nc_u16 v0, v96, v0
	v_and_b32_e32 v81, 0xff, v0
	v_mul_lo_u16 v0, 0xf1, v2
	s_delay_alu instid0(VALU_DEP_2) | instskip(NEXT) | instid1(VALU_DEP_2)
	v_mul_u32_u24_e32 v2, 6, v81
	v_lshrrev_b16 v82, 12, v0
	s_delay_alu instid0(VALU_DEP_2) | instskip(NEXT) | instid1(VALU_DEP_2)
	v_lshlrev_b32_e32 v0, 3, v2
	v_mul_lo_u16 v4, v82, 17
	s_clause 0x1
	global_load_b128 v[32:35], v0, s[10:11]
	global_load_b128 v[28:31], v0, s[10:11] offset:16
	v_sub_nc_u16 v1, v1, v4
	v_and_b32_e32 v82, 0xffff, v82
	s_delay_alu instid0(VALU_DEP_2) | instskip(NEXT) | instid1(VALU_DEP_2)
	v_and_b32_e32 v83, 0xff, v1
	v_mul_u32_u24_e32 v82, 0x77, v82
	s_delay_alu instid0(VALU_DEP_1)
	v_add_lshl_u32 v97, v82, v83, 3
	s_wait_loadcnt_dscnt 0x3
	v_dual_mul_f32 v82, v61, v35 :: v_dual_mul_f32 v85, v56, v29
	global_load_b128 v[24:27], v0, s[10:11] offset:32
	v_and_b32_e32 v2, 0xffff, v3
	v_mul_u32_u24_e32 v1, 6, v83
	v_dual_mul_f32 v83, v60, v35 :: v_dual_and_b32 v80, 0xffff, v80
	v_fmac_f32_e32 v85, v57, v28
	s_wait_dscnt 0x2
	v_mul_f32_e32 v87, v52, v31
	v_mul_f32_e32 v86, v53, v31
	v_fmac_f32_e32 v83, v61, v34
	v_mul_u32_u24_e32 v80, 0x77, v80
	s_delay_alu instid0(VALU_DEP_4) | instskip(NEXT) | instid1(VALU_DEP_4)
	v_fmac_f32_e32 v87, v53, v30
	v_fma_f32 v52, v52, v30, -v86
	s_delay_alu instid0(VALU_DEP_3) | instskip(SKIP_2) | instid1(VALU_DEP_2)
	v_add_lshl_u32 v98, v80, v81, 3
	v_mul_f32_e32 v80, v41, v33
	v_mul_f32_e32 v81, v40, v33
	v_fma_f32 v40, v40, v32, -v80
	s_delay_alu instid0(VALU_DEP_2)
	v_fmac_f32_e32 v81, v41, v32
	v_fma_f32 v41, v60, v34, -v82
	s_wait_loadcnt_dscnt 0x1
	v_mul_f32_e32 v89, v49, v25
	v_mul_u32_u24_e32 v2, 0xf0f1, v2
	s_wait_dscnt 0x0
	v_dual_mul_f32 v91, v45, v27 :: v_dual_mul_f32 v90, v48, v25
	v_mul_f32_e32 v92, v44, v27
	v_fma_f32 v48, v48, v24, -v89
	v_lshrrev_b32_e32 v2, 20, v2
	s_delay_alu instid0(VALU_DEP_4) | instskip(NEXT) | instid1(VALU_DEP_2)
	v_fma_f32 v44, v44, v26, -v91
	v_mul_lo_u16 v0, v2, 17
	scratch_store_b32 off, v2, off offset:60 ; 4-byte Folded Spill
	v_sub_nc_u16 v2, v3, v0
	v_lshlrev_b32_e32 v0, 3, v1
	s_delay_alu instid0(VALU_DEP_2)
	v_mul_lo_u16 v1, v2, 6
	scratch_store_b32 off, v2, off offset:64 ; 4-byte Folded Spill
	s_clause 0x1
	global_load_b128 v[20:23], v0, s[10:11]
	global_load_b128 v[16:19], v0, s[10:11] offset:16
	v_mul_f32_e32 v84, v57, v29
	v_dual_fmac_f32 v90, v49, v24 :: v_dual_and_b32 v1, 0xffff, v1
	v_fmac_f32_e32 v92, v45, v26
	s_delay_alu instid0(VALU_DEP_2)
	v_lshlrev_b32_e32 v8, 3, v1
	s_clause 0x3
	global_load_b128 v[12:15], v0, s[10:11] offset:32
	global_load_b128 v[4:7], v8, s[10:11]
	global_load_b128 v[0:3], v8, s[10:11] offset:16
	global_load_b128 v[8:11], v8, s[10:11] offset:32
	global_wb scope:SCOPE_SE
	s_wait_loadcnt 0x0
	s_wait_storecnt 0x0
	s_barrier_signal -1
	s_barrier_wait -1
	global_inv scope:SCOPE_SE
	v_mul_f32_e32 v45, v43, v21
	v_mul_f32_e32 v49, v42, v21
	;; [unrolled: 1-line block ×3, first 2 shown]
	v_fma_f32 v56, v56, v28, -v84
	v_dual_mul_f32 v57, v62, v23 :: v_dual_mul_f32 v60, v59, v17
	v_dual_mul_f32 v61, v58, v17 :: v_dual_mul_f32 v80, v55, v19
	v_mul_f32_e32 v82, v54, v19
	v_dual_mul_f32 v84, v51, v13 :: v_dual_mul_f32 v91, v46, v15
	v_dual_mul_f32 v86, v50, v13 :: v_dual_mul_f32 v89, v47, v15
	v_mul_f32_e32 v93, v69, v5
	v_dual_mul_f32 v94, v68, v5 :: v_dual_mul_f32 v95, v67, v7
	v_dual_mul_f32 v131, v66, v7 :: v_dual_mul_f32 v132, v71, v1
	v_dual_mul_f32 v139, v78, v11 :: v_dual_fmac_f32 v82, v55, v18
	v_dual_mul_f32 v133, v70, v1 :: v_dual_mul_f32 v134, v77, v3
	v_dual_mul_f32 v135, v76, v3 :: v_dual_mul_f32 v136, v75, v9
	;; [unrolled: 1-line block ×3, first 2 shown]
	v_fma_f32 v42, v42, v20, -v45
	v_fmac_f32_e32 v49, v43, v20
	v_fma_f32 v43, v62, v22, -v53
	v_dual_fmac_f32 v57, v63, v22 :: v_dual_fmac_f32 v94, v69, v4
	v_fma_f32 v45, v58, v16, -v60
	v_fma_f32 v53, v54, v18, -v80
	;; [unrolled: 1-line block ×3, first 2 shown]
	v_dual_fmac_f32 v86, v51, v12 :: v_dual_fmac_f32 v135, v77, v2
	v_fma_f32 v46, v46, v14, -v89
	v_dual_fmac_f32 v91, v47, v14 :: v_dual_add_f32 v60, v40, v44
	v_fma_f32 v47, v68, v4, -v93
	v_fma_f32 v51, v66, v6, -v95
	v_dual_fmac_f32 v131, v67, v6 :: v_dual_add_f32 v62, v81, v92
	v_dual_fmac_f32 v139, v79, v10 :: v_dual_sub_f32 v40, v40, v44
	v_dual_add_f32 v63, v41, v48 :: v_dual_add_f32 v66, v83, v90
	v_fmac_f32_e32 v61, v59, v16
	v_dual_sub_f32 v41, v41, v48 :: v_dual_sub_f32 v48, v83, v90
	v_dual_add_f32 v67, v56, v52 :: v_dual_add_f32 v68, v85, v87
	v_dual_sub_f32 v52, v52, v56 :: v_dual_add_f32 v79, v42, v46
	v_sub_f32_e32 v56, v87, v85
	v_sub_f32_e32 v44, v81, v92
	v_fma_f32 v54, v70, v0, -v132
	v_fmac_f32_e32 v133, v71, v0
	v_fma_f32 v55, v76, v2, -v134
	v_fma_f32 v58, v74, v8, -v136
	v_dual_sub_f32 v74, v66, v62 :: v_dual_fmac_f32 v137, v75, v8
	v_fma_f32 v59, v78, v10, -v138
	v_dual_add_f32 v69, v63, v60 :: v_dual_add_f32 v70, v66, v62
	v_dual_sub_f32 v66, v68, v66 :: v_dual_sub_f32 v71, v63, v60
	v_add_f32_e32 v80, v49, v91
	v_sub_f32_e32 v60, v60, v67
	v_dual_sub_f32 v62, v62, v68 :: v_dual_add_f32 v75, v52, v41
	v_dual_sub_f32 v63, v67, v63 :: v_dual_add_f32 v76, v56, v48
	v_sub_f32_e32 v49, v49, v91
	v_dual_sub_f32 v77, v52, v41 :: v_dual_sub_f32 v42, v42, v46
	v_dual_sub_f32 v78, v56, v48 :: v_dual_add_f32 v81, v57, v86
	v_sub_f32_e32 v52, v40, v52
	v_sub_f32_e32 v56, v44, v56
	v_dual_sub_f32 v41, v41, v40 :: v_dual_add_f32 v46, v43, v50
	v_dual_sub_f32 v48, v48, v44 :: v_dual_add_f32 v83, v61, v82
	v_sub_f32_e32 v43, v43, v50
	v_sub_f32_e32 v50, v57, v86
	v_add_f32_e32 v57, v45, v53
	v_sub_f32_e32 v45, v53, v45
	v_sub_f32_e32 v53, v82, v61
	v_add_f32_e32 v82, v94, v139
	v_dual_add_f32 v61, v47, v59 :: v_dual_add_f32 v68, v68, v70
	v_dual_sub_f32 v59, v47, v59 :: v_dual_add_f32 v44, v76, v44
	v_dual_sub_f32 v84, v94, v139 :: v_dual_add_f32 v47, v51, v58
	v_dual_add_f32 v85, v131, v137 :: v_dual_add_f32 v86, v54, v55
	v_dual_sub_f32 v51, v51, v58 :: v_dual_mul_f32 v60, 0x3f4a47b2, v60
	v_dual_sub_f32 v58, v131, v137 :: v_dual_add_f32 v87, v133, v135
	v_sub_f32_e32 v54, v55, v54
	v_dual_sub_f32 v55, v135, v133 :: v_dual_mul_f32 v62, 0x3f4a47b2, v62
	v_dual_add_f32 v67, v67, v69 :: v_dual_mul_f32 v70, 0x3d64c772, v66
	v_dual_add_f32 v40, v75, v40 :: v_dual_mul_f32 v75, 0xbf08b237, v77
	v_mul_f32_e32 v69, 0x3d64c772, v63
	v_dual_mul_f32 v76, 0xbf08b237, v78 :: v_dual_add_f32 v89, v46, v79
	v_dual_mul_f32 v77, 0x3f5ff5aa, v41 :: v_dual_mul_f32 v78, 0x3f5ff5aa, v48
	v_dual_add_f32 v90, v81, v80 :: v_dual_sub_f32 v91, v46, v79
	v_dual_sub_f32 v92, v81, v80 :: v_dual_sub_f32 v79, v79, v57
	v_dual_sub_f32 v80, v80, v83 :: v_dual_sub_f32 v93, v57, v46
	v_sub_f32_e32 v131, v45, v43
	v_dual_sub_f32 v132, v53, v50 :: v_dual_sub_f32 v81, v83, v81
	v_add_f32_e32 v94, v45, v43
	v_dual_add_f32 v95, v53, v50 :: v_dual_sub_f32 v50, v50, v49
	v_sub_f32_e32 v45, v42, v45
	v_sub_f32_e32 v53, v49, v53
	v_dual_sub_f32 v43, v43, v42 :: v_dual_add_f32 v138, v54, v51
	v_dual_add_f32 v133, v47, v61 :: v_dual_add_f32 v134, v85, v82
	v_dual_sub_f32 v135, v47, v61 :: v_dual_sub_f32 v136, v85, v82
	v_dual_sub_f32 v61, v61, v86 :: v_dual_sub_f32 v140, v54, v51
	v_sub_f32_e32 v82, v82, v87
	v_sub_f32_e32 v137, v86, v47
	;; [unrolled: 1-line block ×3, first 2 shown]
	v_dual_add_f32 v139, v55, v58 :: v_dual_add_f32 v46, v36, v67
	v_dual_sub_f32 v141, v55, v58 :: v_dual_fmamk_f32 v66, v66, 0x3d64c772, v62
	v_dual_sub_f32 v54, v59, v54 :: v_dual_sub_f32 v55, v84, v55
	v_add_f32_e32 v47, v37, v68
	v_dual_fmamk_f32 v63, v63, 0x3d64c772, v60 :: v_dual_add_f32 v86, v86, v133
	v_fma_f32 v69, 0x3f3bfb3b, v71, -v69
	v_fma_f32 v70, 0x3f3bfb3b, v74, -v70
	;; [unrolled: 1-line block ×4, first 2 shown]
	v_fmamk_f32 v71, v52, 0x3eae86e6, v75
	v_fmamk_f32 v74, v56, 0x3eae86e6, v76
	v_fma_f32 v77, 0xbeae86e6, v52, -v77
	v_fma_f32 v78, 0xbeae86e6, v56, -v78
	v_add_f32_e32 v52, v57, v89
	v_dual_add_f32 v56, v83, v90 :: v_dual_mul_f32 v37, 0x3f4a47b2, v80
	v_mul_f32_e32 v82, 0x3f4a47b2, v82
	v_dual_mul_f32 v80, 0xbf08b237, v131 :: v_dual_mul_f32 v83, 0xbf08b237, v132
	v_dual_sub_f32 v51, v51, v59 :: v_dual_add_f32 v42, v94, v42
	v_sub_f32_e32 v58, v58, v84
	v_fma_f32 v75, 0x3f5ff5aa, v41, -v75
	v_fma_f32 v76, 0x3f5ff5aa, v48, -v76
	v_dual_add_f32 v57, v95, v49 :: v_dual_mul_f32 v36, 0x3f4a47b2, v79
	v_dual_mul_f32 v41, 0x3d64c772, v93 :: v_dual_add_f32 v48, v38, v52
	v_mul_f32_e32 v79, 0x3d64c772, v81
	v_dual_mul_f32 v89, 0x3f5ff5aa, v43 :: v_dual_mul_f32 v90, 0x3f5ff5aa, v50
	v_dual_add_f32 v87, v87, v134 :: v_dual_mul_f32 v94, 0x3d64c772, v137
	v_dual_add_f32 v59, v138, v59 :: v_dual_mul_f32 v132, 0xbf08b237, v141
	v_dual_add_f32 v84, v139, v84 :: v_dual_mul_f32 v61, 0x3f4a47b2, v61
	v_dual_fmamk_f32 v67, v67, 0xbf955555, v46 :: v_dual_fmamk_f32 v68, v68, 0xbf955555, v47
	v_mul_f32_e32 v95, 0x3d64c772, v85
	v_mul_f32_e32 v131, 0xbf08b237, v140
	v_fmamk_f32 v139, v53, 0x3eae86e6, v83
	v_dual_mul_f32 v133, 0x3f5ff5aa, v51 :: v_dual_mul_f32 v134, 0x3f5ff5aa, v58
	v_fmac_f32_e32 v74, 0x3ee1c552, v44
	v_fmac_f32_e32 v76, 0x3ee1c552, v44
	v_dual_add_f32 v49, v39, v56 :: v_dual_fmamk_f32 v138, v45, 0x3eae86e6, v80
	v_fmac_f32_e32 v71, 0x3ee1c552, v40
	v_fmamk_f32 v81, v81, 0x3d64c772, v37
	v_fma_f32 v80, 0x3f5ff5aa, v43, -v80
	v_fma_f32 v89, 0xbeae86e6, v45, -v89
	;; [unrolled: 1-line block ×3, first 2 shown]
	v_fmac_f32_e32 v77, 0x3ee1c552, v40
	v_dual_fmamk_f32 v39, v55, 0x3eae86e6, v132 :: v_dual_add_f32 v60, v60, v67
	v_fmamk_f32 v38, v54, 0x3eae86e6, v131
	v_add_f32_e32 v62, v62, v68
	v_dual_fmac_f32 v78, 0x3ee1c552, v44 :: v_dual_fmac_f32 v139, 0x3ee1c552, v57
	v_fmamk_f32 v44, v93, 0x3d64c772, v36
	v_fma_f32 v93, 0x3f3bfb3b, v91, -v41
	v_fma_f32 v79, 0x3f3bfb3b, v92, -v79
	;; [unrolled: 1-line block ×4, first 2 shown]
	v_dual_add_f32 v36, v64, v86 :: v_dual_add_f32 v37, v65, v87
	v_fmamk_f32 v43, v137, 0x3d64c772, v61
	v_fmamk_f32 v45, v85, 0x3d64c772, v82
	v_fma_f32 v65, 0x3f3bfb3b, v136, -v95
	v_fma_f32 v85, 0xbf3bfb3b, v135, -v61
	;; [unrolled: 1-line block ×3, first 2 shown]
	v_add_f32_e32 v61, v63, v67
	v_dual_add_f32 v63, v66, v68 :: v_dual_add_f32 v58, v69, v67
	v_fmamk_f32 v67, v52, 0xbf955555, v48
	v_dual_fmac_f32 v75, 0x3ee1c552, v40 :: v_dual_fmac_f32 v80, 0x3ee1c552, v42
	v_fma_f32 v83, 0x3f5ff5aa, v50, -v83
	v_fma_f32 v64, 0x3f3bfb3b, v135, -v94
	;; [unrolled: 1-line block ×4, first 2 shown]
	v_add_f32_e32 v66, v70, v68
	v_fmamk_f32 v68, v56, 0xbf955555, v49
	v_fmac_f32_e32 v138, 0x3ee1c552, v42
	v_fmac_f32_e32 v90, 0x3ee1c552, v57
	v_dual_fmamk_f32 v69, v86, 0xbf955555, v36 :: v_dual_add_f32 v56, v76, v58
	v_fmamk_f32 v70, v87, 0xbf955555, v37
	v_fmac_f32_e32 v39, 0x3ee1c552, v84
	v_dual_fmac_f32 v95, 0x3ee1c552, v84 :: v_dual_add_f32 v50, v74, v61
	v_dual_sub_f32 v51, v63, v71 :: v_dual_sub_f32 v54, v58, v76
	v_add_f32_e32 v52, v78, v60
	v_dual_sub_f32 v53, v62, v77 :: v_dual_sub_f32 v58, v60, v78
	v_sub_f32_e32 v60, v61, v74
	v_add_f32_e32 v74, v44, v67
	v_fma_f32 v82, 0xbf3bfb3b, v136, -v82
	v_fma_f32 v40, 0xbeae86e6, v55, -v134
	v_dual_fmac_f32 v83, 0x3ee1c552, v57 :: v_dual_fmac_f32 v38, 0x3ee1c552, v59
	v_dual_fmac_f32 v89, 0x3ee1c552, v42 :: v_dual_fmac_f32 v94, 0x3ee1c552, v59
	s_delay_alu instid0(VALU_DEP_3)
	v_dual_fmac_f32 v41, 0x3ee1c552, v59 :: v_dual_fmac_f32 v40, 0x3ee1c552, v84
	v_dual_add_f32 v55, v75, v66 :: v_dual_add_f32 v78, v92, v68
	v_dual_sub_f32 v57, v66, v75 :: v_dual_add_f32 v76, v79, v68
	v_dual_add_f32 v59, v77, v62 :: v_dual_add_f32 v42, v43, v69
	v_dual_add_f32 v75, v81, v68 :: v_dual_add_f32 v62, v139, v74
	v_dual_add_f32 v81, v65, v70 :: v_dual_sub_f32 v74, v74, v139
	v_add_f32_e32 v77, v91, v67
	v_dual_add_f32 v61, v71, v63 :: v_dual_add_f32 v44, v85, v69
	s_delay_alu instid0(VALU_DEP_3) | instskip(SKIP_1) | instid1(VALU_DEP_4)
	v_dual_add_f32 v132, v94, v81 :: v_dual_add_f32 v71, v93, v67
	v_add_f32_e32 v79, v64, v69
	v_dual_add_f32 v64, v90, v77 :: v_dual_add_f32 v43, v45, v70
	s_delay_alu instid0(VALU_DEP_3)
	v_dual_add_f32 v45, v82, v70 :: v_dual_sub_f32 v66, v71, v83
	v_sub_f32_e32 v63, v75, v138
	v_dual_add_f32 v67, v80, v76 :: v_dual_sub_f32 v134, v81, v94
	v_dual_add_f32 v68, v83, v71 :: v_dual_sub_f32 v69, v76, v80
	v_add_f32_e32 v75, v138, v75
	v_add_f32_e32 v138, v38, v43
	v_sub_f32_e32 v131, v79, v95
	v_add_f32_e32 v133, v95, v79
	v_dual_sub_f32 v135, v44, v40 :: v_dual_add_f32 v136, v41, v45
	v_sub_f32_e32 v137, v42, v39
	v_dual_sub_f32 v65, v78, v89 :: v_dual_sub_f32 v70, v77, v90
	v_add_f32_e32 v71, v89, v78
	ds_store_2addr_b64 v98, v[46:47], v[50:51] offset1:17
	ds_store_2addr_b64 v98, v[52:53], v[54:55] offset0:34 offset1:51
	ds_store_2addr_b64 v98, v[56:57], v[58:59] offset0:68 offset1:85
	scratch_store_b32 off, v98, off offset:72 ; 4-byte Folded Spill
	ds_store_b64 v98, v[60:61] offset:816
	ds_store_2addr_b64 v97, v[48:49], v[62:63] offset1:17
	ds_store_2addr_b64 v97, v[64:65], v[66:67] offset0:34 offset1:51
	ds_store_2addr_b64 v97, v[68:69], v[70:71] offset0:68 offset1:85
	scratch_store_b32 off, v97, off offset:68 ; 4-byte Folded Spill
	ds_store_b64 v97, v[74:75] offset:816
	s_and_saveexec_b32 s2, vcc_lo
	s_cbranch_execz .LBB0_5
; %bb.4:
	s_clause 0x1
	scratch_load_b32 v46, off, off offset:60
	scratch_load_b32 v47, off, off offset:64
	v_dual_sub_f32 v43, v43, v38 :: v_dual_add_f32 v40, v40, v44
	v_dual_add_f32 v42, v39, v42 :: v_dual_sub_f32 v41, v45, v41
	s_wait_loadcnt 0x0
	v_mad_u16 v46, 0x77, v46, v47
	s_delay_alu instid0(VALU_DEP_1) | instskip(NEXT) | instid1(VALU_DEP_1)
	v_and_b32_e32 v46, 0xffff, v46
	v_lshlrev_b32_e32 v38, 3, v46
	ds_store_2addr_b64 v38, v[36:37], v[42:43] offset1:17
	ds_store_2addr_b64 v38, v[40:41], v[131:132] offset0:34 offset1:51
	ds_store_2addr_b64 v38, v[133:134], v[135:136] offset0:68 offset1:85
	ds_store_b64 v38, v[137:138] offset:816
.LBB0_5:
	s_wait_alu 0xfffe
	s_or_b32 exec_lo, exec_lo, s2
	v_lshlrev_b32_e32 v75, 7, v96
	scratch_store_b32 off, v96, off offset:56 ; 4-byte Folded Spill
	global_wb scope:SCOPE_SE
	s_wait_storecnt_dscnt 0x0
	s_barrier_signal -1
	s_barrier_wait -1
	global_inv scope:SCOPE_SE
	s_clause 0x3
	global_load_b128 v[36:39], v75, s[10:11] offset:816
	global_load_b128 v[64:67], v75, s[10:11] offset:832
	;; [unrolled: 1-line block ×4, first 2 shown]
	v_add_nc_u32_e32 v74, 0x400, v145
	v_add_nc_u32_e32 v76, 0xc00, v145
	;; [unrolled: 1-line block ×3, first 2 shown]
	ds_load_2addr_b64 v[44:47], v74 offset0:110 offset1:229
	ds_load_2addr_b64 v[48:51], v76 offset0:92 offset1:211
	s_add_nc_u64 s[2:3], s[8:9], 0x3f38
	v_add_nc_u32_e32 v81, 0x2400, v145
	s_wait_loadcnt_dscnt 0x301
	v_dual_mul_f32 v79, v44, v39 :: v_dual_add_nc_u32 v80, 0x1400, v145
	v_mul_f32_e32 v56, v45, v39
	s_wait_loadcnt_dscnt 0x200
	v_mul_f32_e32 v83, v48, v67
	s_wait_loadcnt 0x1
	v_mul_f32_e32 v87, v50, v61
	v_fmac_f32_e32 v79, v45, v38
	ds_load_2addr_b64 v[52:55], v80 offset0:74 offset1:193
	v_mul_f32_e32 v82, v46, v65
	v_mul_f32_e32 v59, v51, v61
	v_fma_f32 v92, v44, v38, -v56
	v_fmac_f32_e32 v83, v49, v66
	v_fmac_f32_e32 v87, v51, v60
	v_dual_mul_f32 v57, v47, v65 :: v_dual_mul_f32 v58, v49, v67
	s_delay_alu instid0(VALU_DEP_1) | instskip(NEXT) | instid1(VALU_DEP_2)
	v_fma_f32 v93, v46, v64, -v57
	v_fma_f32 v95, v48, v66, -v58
	s_wait_dscnt 0x0
	v_mul_f32_e32 v44, v53, v63
	v_dual_mul_f32 v91, v52, v63 :: v_dual_fmac_f32 v82, v47, v64
	s_wait_loadcnt 0x0
	v_mul_f32_e32 v94, v54, v41
	v_add_nc_u32_e32 v89, 0x1c00, v145
	v_fma_f32 v139, v50, v60, -v59
	v_fma_f32 v140, v52, v62, -v44
	s_delay_alu instid0(VALU_DEP_4) | instskip(SKIP_4) | instid1(VALU_DEP_2)
	v_dual_fmac_f32 v91, v53, v62 :: v_dual_fmac_f32 v94, v55, v40
	ds_load_2addr_b64 v[50:53], v89 offset0:56 offset1:175
	s_wait_dscnt 0x0
	v_dual_mul_f32 v45, v55, v41 :: v_dual_mul_f32 v142, v50, v43
	v_mul_f32_e32 v44, v51, v43
	v_fma_f32 v141, v54, v40, -v45
	s_delay_alu instid0(VALU_DEP_3) | instskip(NEXT) | instid1(VALU_DEP_3)
	v_fmac_f32_e32 v142, v51, v42
	v_fma_f32 v143, v50, v42, -v44
	s_clause 0x1
	global_load_b128 v[48:51], v75, s[10:11] offset:880
	global_load_b128 v[44:47], v75, s[10:11] offset:896
	s_wait_loadcnt 0x1
	v_mul_f32_e32 v54, v53, v49
	v_mul_f32_e32 v154, v52, v49
	s_delay_alu instid0(VALU_DEP_2) | instskip(NEXT) | instid1(VALU_DEP_2)
	v_fma_f32 v153, v52, v48, -v54
	v_fmac_f32_e32 v154, v53, v48
	ds_load_2addr_b64 v[52:55], v81 offset0:38 offset1:157
	s_wait_loadcnt_dscnt 0x0
	v_dual_mul_f32 v159, v54, v45 :: v_dual_mul_f32 v56, v53, v51
	v_dual_mul_f32 v156, v52, v51 :: v_dual_sub_f32 v231, v142, v154
	s_delay_alu instid0(VALU_DEP_2) | instskip(NEXT) | instid1(VALU_DEP_3)
	v_fmac_f32_e32 v159, v55, v44
	v_fma_f32 v155, v52, v50, -v56
	v_mul_f32_e32 v52, v55, v45
	s_delay_alu instid0(VALU_DEP_3) | instskip(SKIP_1) | instid1(VALU_DEP_3)
	v_dual_fmac_f32 v156, v53, v50 :: v_dual_sub_f32 v221, v91, v159
	v_mul_f32_e32 v151, 0x3f65296c, v231
	v_fma_f32 v158, v54, v44, -v52
	v_add_nc_u32_e32 v52, 0x2c00, v145
	s_delay_alu instid0(VALU_DEP_4) | instskip(SKIP_1) | instid1(VALU_DEP_4)
	v_mul_f32_e32 v102, 0xbe3c28d5, v221
	v_mul_f32_e32 v148, 0xbf2c7751, v221
	v_sub_f32_e32 v222, v140, v158
	ds_load_2addr_b64 v[68:71], v52 offset0:20 offset1:139
	s_wait_dscnt 0x0
	v_mul_f32_e32 v52, v69, v47
	v_mul_f32_e32 v164, v68, v47
	s_delay_alu instid0(VALU_DEP_2)
	v_fma_f32 v163, v68, v46, -v52
	s_clause 0x1
	global_load_b128 v[56:59], v75, s[10:11] offset:912
	global_load_b128 v[52:55], v75, s[10:11] offset:928
	v_fmac_f32_e32 v164, v69, v46
	v_sub_f32_e32 v212, v139, v163
	s_delay_alu instid0(VALU_DEP_1) | instskip(SKIP_3) | instid1(VALU_DEP_2)
	v_mul_f32_e32 v101, 0xbeb8f4ab, v212
	s_wait_loadcnt 0x1
	v_dual_mul_f32 v147, 0x3f7ee86f, v212 :: v_dual_mul_f32 v68, v71, v57
	v_mul_f32_e32 v166, v70, v57
	v_fma_f32 v165, v70, v56, -v68
	s_delay_alu instid0(VALU_DEP_2)
	v_fmac_f32_e32 v166, v71, v56
	ds_load_2addr_b64 v[68:71], v90 offset0:130 offset1:249
	s_wait_dscnt 0x0
	v_dual_sub_f32 v200, v95, v165 :: v_dual_mul_f32 v75, v69, v59
	v_mul_f32_e32 v168, v68, v59
	s_wait_loadcnt 0x0
	v_mul_f32_e32 v170, v70, v53
	s_delay_alu instid0(VALU_DEP_3) | instskip(SKIP_2) | instid1(VALU_DEP_4)
	v_fma_f32 v167, v68, v58, -v75
	v_mul_f32_e32 v68, v71, v53
	v_fmac_f32_e32 v168, v69, v58
	v_fmac_f32_e32 v170, v71, v52
	s_delay_alu instid0(VALU_DEP_3) | instskip(SKIP_4) | instid1(VALU_DEP_2)
	v_fma_f32 v169, v70, v52, -v68
	ds_load_b64 v[68:69], v145 offset:15232
	s_wait_dscnt 0x0
	v_mul_f32_e32 v70, v69, v55
	v_mul_f32_e32 v172, v68, v55
	v_fma_f32 v171, v68, v54, -v70
	s_delay_alu instid0(VALU_DEP_2) | instskip(SKIP_3) | instid1(VALU_DEP_1)
	v_fmac_f32_e32 v172, v69, v54
	ds_load_2addr_b64 v[68:71], v145 offset1:119
	s_wait_dscnt 0x0
	v_mul_f32_e32 v75, v70, v37
	v_fmac_f32_e32 v75, v71, v36
	v_mul_f32_e32 v71, v71, v37
	v_sub_f32_e32 v227, v94, v156
	s_delay_alu instid0(VALU_DEP_2) | instskip(NEXT) | instid1(VALU_DEP_4)
	v_fma_f32 v70, v70, v36, -v71
	v_sub_f32_e32 v71, v75, v172
	s_delay_alu instid0(VALU_DEP_3) | instskip(NEXT) | instid1(VALU_DEP_3)
	v_mul_f32_e32 v235, 0x3f4c4adb, v227
	v_dual_mul_f32 v108, 0xbe3c28d5, v227 :: v_dual_add_f32 v219, v68, v70
	s_delay_alu instid0(VALU_DEP_3)
	v_mul_f32_e32 v77, 0xbeb8f4ab, v71
	v_mul_f32_e32 v78, 0xbf2c7751, v71
	;; [unrolled: 1-line block ×8, first 2 shown]
	v_add_f32_e32 v71, v70, v171
	v_sub_f32_e32 v209, v87, v164
	s_delay_alu instid0(VALU_DEP_2)
	v_fma_f32 v173, 0x3ee437d1, v71, -v84
	v_fma_f32 v85, 0x3f6eb680, v71, -v77
	v_fmac_f32_e32 v77, 0x3f6eb680, v71
	v_fma_f32 v144, 0x3f3d2fb0, v71, -v78
	v_fmac_f32_e32 v78, 0x3f3d2fb0, v71
	v_fmac_f32_e32 v84, 0x3ee437d1, v71
	v_fma_f32 v174, 0x3dbcf732, v71, -v86
	v_fmac_f32_e32 v86, 0x3dbcf732, v71
	v_fma_f32 v175, 0xbe8c1d8e, v71, -v157
	;; [unrolled: 2-line block ×4, first 2 shown]
	v_add_f32_e32 v211, v68, v173
	v_fma_f32 v176, 0xbf1a4643, v71, -v160
	v_fmac_f32_e32 v160, 0xbf1a4643, v71
	v_fmac_f32_e32 v162, 0xbf7ba420, v71
	v_dual_sub_f32 v71, v70, v171 :: v_dual_add_f32 v70, v68, v77
	s_delay_alu instid0(VALU_DEP_4) | instskip(SKIP_2) | instid1(VALU_DEP_4)
	v_add_f32_e32 v199, v68, v176
	v_add_f32_e32 v214, v68, v144
	;; [unrolled: 1-line block ×3, first 2 shown]
	v_mul_f32_e32 v181, 0xbf763a35, v71
	v_dual_mul_f32 v182, 0xbf4c4adb, v71 :: v_dual_add_f32 v185, v75, v172
	v_mul_f32_e32 v177, 0xbf2c7751, v71
	v_mul_f32_e32 v184, 0xbf06c442, v71
	;; [unrolled: 1-line block ×3, first 2 shown]
	s_delay_alu instid0(VALU_DEP_4) | instskip(SKIP_2) | instid1(VALU_DEP_4)
	v_dual_add_f32 v206, v68, v175 :: v_dual_fmamk_f32 v191, v185, 0xbf1a4643, v182
	v_fma_f32 v192, 0xbf1a4643, v185, -v182
	v_mul_f32_e32 v152, 0xbeb8f4ab, v71
	v_fmamk_f32 v189, v185, 0x3dbcf732, v180
	v_fmamk_f32 v190, v185, 0xbe8c1d8e, v181
	v_dual_add_f32 v198, v69, v191 :: v_dual_sub_f32 v191, v79, v170
	v_fmamk_f32 v193, v185, 0xbf59a7d5, v184
	v_fma_f32 v184, 0xbf59a7d5, v185, -v184
	v_mul_f32_e32 v178, 0xbf65296c, v71
	v_mul_f32_e32 v71, 0xbe3c28d5, v71
	v_fma_f32 v181, 0xbe8c1d8e, v185, -v181
	v_fmamk_f32 v187, v185, 0x3f3d2fb0, v177
	v_fma_f32 v177, 0x3f3d2fb0, v185, -v177
	v_add_f32_e32 v207, v69, v189
	v_fmamk_f32 v196, v185, 0xbf7ba420, v71
	v_add_f32_e32 v173, v69, v181
	v_add_f32_e32 v181, v69, v192
	v_fmamk_f32 v186, v185, 0x3f6eb680, v152
	v_fma_f32 v152, 0x3f6eb680, v185, -v152
	v_add_f32_e32 v194, v69, v193
	v_add_f32_e32 v179, v69, v184
	v_fmamk_f32 v188, v185, 0x3ee437d1, v178
	v_fma_f32 v178, 0x3ee437d1, v185, -v178
	v_dual_sub_f32 v192, v92, v169 :: v_dual_sub_f32 v193, v82, v168
	v_add_f32_e32 v189, v69, v196
	v_fma_f32 v180, 0x3dbcf732, v185, -v180
	v_fma_f32 v185, 0xbf7ba420, v185, -v71
	v_sub_f32_e32 v196, v93, v167
	v_dual_add_f32 v220, v69, v75 :: v_dual_add_f32 v75, v68, v85
	v_add_f32_e32 v197, v69, v186
	v_add_f32_e32 v71, v69, v152
	v_dual_add_f32 v213, v69, v187 :: v_dual_add_f32 v152, v68, v78
	v_add_f32_e32 v144, v69, v177
	v_add_f32_e32 v210, v69, v188
	v_dual_add_f32 v208, v68, v174 :: v_dual_add_f32 v177, v69, v180
	v_add_f32_e32 v85, v68, v84
	v_dual_add_f32 v205, v69, v190 :: v_dual_add_f32 v174, v68, v157
	v_add_f32_e32 v182, v68, v160
	v_add_f32_e32 v180, v68, v161
	;; [unrolled: 1-line block ×3, first 2 shown]
	v_dual_add_f32 v186, v68, v162 :: v_dual_add_f32 v185, v69, v185
	v_mul_f32_e32 v78, 0xbf2c7751, v192
	v_dual_mul_f32 v161, 0xbf65296c, v196 :: v_dual_add_f32 v84, v69, v178
	v_add_f32_e32 v178, v68, v86
	v_dual_add_f32 v69, v92, v169 :: v_dual_mul_f32 v68, 0xbf2c7751, v191
	v_add_f32_e32 v86, v93, v167
	v_mul_f32_e32 v237, 0x3f2c7751, v231
	v_mul_f32_e32 v239, 0x3f06c442, v191
	v_dual_mul_f32 v96, 0x3f65296c, v191 :: v_dual_mul_f32 v97, 0x3f65296c, v192
	v_fma_f32 v77, 0x3f3d2fb0, v69, -v68
	v_mul_f32_e32 v252, 0xbeb8f4ab, v196
	scratch_store_b32 off, v70, off offset:76 ; 4-byte Folded Spill
	v_dual_mul_f32 v100, 0xbeb8f4ab, v209 :: v_dual_add_f32 v157, v77, v75
	v_add_f32_e32 v77, v79, v170
	s_delay_alu instid0(VALU_DEP_1) | instskip(NEXT) | instid1(VALU_DEP_1)
	v_fmamk_f32 v75, v77, 0x3f3d2fb0, v78
	v_add_f32_e32 v162, v75, v197
	v_mul_f32_e32 v75, 0xbf65296c, v193
	v_sub_f32_e32 v197, v83, v166
	v_add_f32_e32 v79, v220, v79
	v_sub_f32_e32 v228, v141, v155
	s_delay_alu instid0(VALU_DEP_4) | instskip(NEXT) | instid1(VALU_DEP_4)
	v_fma_f32 v160, 0x3ee437d1, v86, -v75
	v_mul_f32_e32 v253, 0xbf06c442, v197
	s_delay_alu instid0(VALU_DEP_3) | instskip(SKIP_1) | instid1(VALU_DEP_4)
	v_dual_add_f32 v79, v79, v82 :: v_dual_mul_f32 v236, 0x3f4c4adb, v228
	v_dual_mul_f32 v104, 0x3f2c7751, v227 :: v_dual_mul_f32 v105, 0x3f2c7751, v228
	v_dual_add_f32 v175, v160, v157 :: v_dual_add_f32 v160, v82, v168
	s_delay_alu instid0(VALU_DEP_3) | instskip(SKIP_2) | instid1(VALU_DEP_4)
	v_add_f32_e32 v79, v79, v83
	v_mul_f32_e32 v149, 0xbe3c28d5, v228
	v_mul_f32_e32 v98, 0x3f4c4adb, v197
	v_fmamk_f32 v157, v160, 0x3ee437d1, v161
	s_delay_alu instid0(VALU_DEP_4) | instskip(NEXT) | instid1(VALU_DEP_2)
	v_add_f32_e32 v79, v79, v87
	v_dual_add_f32 v183, v157, v162 :: v_dual_add_f32 v162, v95, v165
	v_mul_f32_e32 v157, 0xbf7ee86f, v197
	s_delay_alu instid0(VALU_DEP_3) | instskip(NEXT) | instid1(VALU_DEP_2)
	v_add_f32_e32 v79, v79, v91
	v_fma_f32 v176, 0x3dbcf732, v162, -v157
	s_delay_alu instid0(VALU_DEP_2) | instskip(NEXT) | instid1(VALU_DEP_2)
	v_add_f32_e32 v79, v79, v94
	v_add_f32_e32 v187, v176, v175
	v_dual_add_f32 v175, v83, v166 :: v_dual_mul_f32 v176, 0xbf7ee86f, v200
	s_delay_alu instid0(VALU_DEP_3) | instskip(NEXT) | instid1(VALU_DEP_2)
	v_add_f32_e32 v79, v79, v142
	v_fmamk_f32 v184, v175, 0x3dbcf732, v176
	s_delay_alu instid0(VALU_DEP_2) | instskip(NEXT) | instid1(VALU_DEP_2)
	v_add_f32_e32 v79, v79, v154
	v_add_f32_e32 v201, v184, v183
	v_dual_add_f32 v184, v139, v163 :: v_dual_mul_f32 v183, 0xbf763a35, v209
	s_delay_alu instid0(VALU_DEP_3) | instskip(SKIP_1) | instid1(VALU_DEP_3)
	v_add_f32_e32 v79, v79, v156
	v_mul_f32_e32 v255, 0x3f7ee86f, v209
	v_fma_f32 v188, 0xbe8c1d8e, v184, -v183
	s_delay_alu instid0(VALU_DEP_3) | instskip(NEXT) | instid1(VALU_DEP_2)
	v_add_f32_e32 v79, v79, v159
	v_add_f32_e32 v203, v188, v187
	;; [unrolled: 1-line block ×3, first 2 shown]
	v_mul_f32_e32 v188, 0xbf763a35, v212
	s_delay_alu instid0(VALU_DEP_4) | instskip(SKIP_1) | instid1(VALU_DEP_3)
	v_add_f32_e32 v79, v79, v164
	v_dual_mul_f32 v87, 0xbf7ee86f, v192 :: v_dual_sub_f32 v232, v143, v153
	v_fmamk_f32 v202, v187, 0xbe8c1d8e, v188
	s_delay_alu instid0(VALU_DEP_3) | instskip(NEXT) | instid1(VALU_DEP_2)
	v_add_f32_e32 v79, v79, v166
	v_dual_add_f32 v215, v202, v201 :: v_dual_add_f32 v202, v140, v158
	v_mul_f32_e32 v201, 0xbf4c4adb, v221
	s_delay_alu instid0(VALU_DEP_3) | instskip(NEXT) | instid1(VALU_DEP_2)
	v_dual_add_f32 v79, v79, v168 :: v_dual_fmac_f32 v68, 0x3f3d2fb0, v69
	v_fma_f32 v204, 0xbf1a4643, v202, -v201
	s_delay_alu instid0(VALU_DEP_2) | instskip(NEXT) | instid1(VALU_DEP_2)
	v_add_f32_e32 v79, v79, v170
	v_dual_add_f32 v217, v204, v203 :: v_dual_mul_f32 v204, 0xbf4c4adb, v222
	v_add_f32_e32 v92, v219, v92
	v_add_f32_e32 v203, v91, v159
	s_delay_alu instid0(VALU_DEP_4) | instskip(SKIP_1) | instid1(VALU_DEP_4)
	v_add_f32_e32 v83, v79, v172
	v_mul_f32_e32 v79, 0xbf7ee86f, v191
	v_dual_mul_f32 v159, 0xbf4c4adb, v192 :: v_dual_add_f32 v92, v92, v93
	v_mul_f32_e32 v93, 0xbf4c4adb, v193
	s_delay_alu instid0(VALU_DEP_2) | instskip(SKIP_1) | instid1(VALU_DEP_3)
	v_dual_mul_f32 v219, 0x3eb8f4ab, v197 :: v_dual_add_f32 v82, v92, v95
	v_mul_f32_e32 v95, 0xbe3c28d5, v197
	v_fma_f32 v91, 0xbf1a4643, v86, -v93
	v_fmamk_f32 v92, v77, 0xbf1a4643, v159
	s_delay_alu instid0(VALU_DEP_4) | instskip(NEXT) | instid1(VALU_DEP_2)
	v_dual_fmac_f32 v93, 0xbf1a4643, v86 :: v_dual_add_f32 v82, v82, v139
	v_add_f32_e32 v92, v92, v210
	s_delay_alu instid0(VALU_DEP_2) | instskip(SKIP_1) | instid1(VALU_DEP_2)
	v_add_f32_e32 v82, v82, v140
	v_mul_f32_e32 v140, 0x3f06c442, v209
	v_add_f32_e32 v82, v82, v141
	s_delay_alu instid0(VALU_DEP_1) | instskip(NEXT) | instid1(VALU_DEP_1)
	v_add_f32_e32 v82, v82, v143
	v_add_f32_e32 v82, v82, v153
	s_delay_alu instid0(VALU_DEP_1) | instskip(NEXT) | instid1(VALU_DEP_1)
	v_add_f32_e32 v82, v82, v155
	v_add_f32_e32 v82, v82, v158
	v_mul_f32_e32 v158, 0xbf4c4adb, v191
	s_delay_alu instid0(VALU_DEP_2) | instskip(NEXT) | instid1(VALU_DEP_1)
	v_dual_add_f32 v82, v82, v163 :: v_dual_mul_f32 v163, 0x3e3c28d5, v193
	v_add_f32_e32 v82, v82, v165
	s_delay_alu instid0(VALU_DEP_2) | instskip(SKIP_1) | instid1(VALU_DEP_1)
	v_fma_f32 v164, 0xbf7ba420, v86, -v163
	v_fmamk_f32 v216, v203, 0xbf1a4643, v204
	v_add_f32_e32 v223, v216, v215
	v_add_f32_e32 v215, v141, v155
	v_mul_f32_e32 v216, 0xbf06c442, v227
	v_dual_add_f32 v82, v82, v167 :: v_dual_mul_f32 v139, 0xbe3c28d5, v200
	v_mul_f32_e32 v141, 0x3f06c442, v212
	v_mul_f32_e32 v155, 0x3eb8f4ab, v231
	s_delay_alu instid0(VALU_DEP_4) | instskip(NEXT) | instid1(VALU_DEP_4)
	v_fma_f32 v218, 0xbf59a7d5, v215, -v216
	v_add_f32_e32 v82, v82, v169
	v_mul_f32_e32 v220, 0x3eb8f4ab, v200
	v_mul_f32_e32 v99, 0x3f4c4adb, v200
	s_delay_alu instid0(VALU_DEP_4)
	v_dual_mul_f32 v254, 0xbf06c442, v200 :: v_dual_add_f32 v225, v218, v217
	v_add_f32_e32 v217, v94, v156
	v_mul_f32_e32 v218, 0xbf06c442, v228
	v_add_f32_e32 v82, v82, v171
	v_mul_f32_e32 v94, 0xbf4c4adb, v196
	v_fmac_f32_e32 v183, 0xbe8c1d8e, v184
	v_fmac_f32_e32 v75, 0x3ee437d1, v86
	v_fmamk_f32 v224, v217, 0xbf59a7d5, v218
	v_fmac_f32_e32 v216, 0xbf59a7d5, v215
	s_delay_alu instid0(VALU_DEP_2) | instskip(SKIP_4) | instid1(VALU_DEP_4)
	v_add_f32_e32 v230, v224, v223
	v_dual_add_f32 v224, v143, v153 :: v_dual_mul_f32 v223, 0xbe3c28d5, v231
	v_mul_f32_e32 v153, 0x3f65296c, v227
	v_fmac_f32_e32 v201, 0xbf1a4643, v202
	v_fmac_f32_e32 v157, 0x3dbcf732, v162
	v_fma_f32 v226, 0xbf7ba420, v224, -v223
	v_fmac_f32_e32 v223, 0xbf7ba420, v224
	s_delay_alu instid0(VALU_DEP_2) | instskip(SKIP_2) | instid1(VALU_DEP_2)
	v_add_f32_e32 v229, v226, v225
	v_dual_add_f32 v225, v142, v154 :: v_dual_mul_f32 v226, 0xbe3c28d5, v232
	v_mul_f32_e32 v154, 0x3f65296c, v228
	v_fmamk_f32 v233, v225, 0xbf7ba420, v226
	v_dual_mul_f32 v142, 0x3f763a35, v221 :: v_dual_mul_f32 v143, 0x3f763a35, v222
	v_mul_f32_e32 v234, 0xbf06c442, v222
	v_mul_f32_e32 v146, 0xbf2c7751, v222
	s_delay_alu instid0(VALU_DEP_4)
	v_dual_add_f32 v230, v233, v230 :: v_dual_mul_f32 v233, 0xbf06c442, v221
	v_mul_f32_e32 v103, 0xbe3c28d5, v222
	ds_store_2addr_b64 v145, v[82:83], v[229:230] offset1:119
	v_fma_f32 v82, 0x3dbcf732, v69, -v79
	v_fmamk_f32 v83, v77, 0x3dbcf732, v87
	v_mul_f32_e32 v156, 0x3eb8f4ab, v232
	v_dual_mul_f32 v229, 0xbf65296c, v209 :: v_dual_mul_f32 v230, 0xbf65296c, v212
	s_delay_alu instid0(VALU_DEP_3) | instskip(SKIP_3) | instid1(VALU_DEP_4)
	v_dual_add_f32 v82, v82, v214 :: v_dual_add_f32 v83, v83, v213
	v_mul_f32_e32 v214, 0x3f763a35, v196
	v_mul_f32_e32 v238, 0x3f2c7751, v232
	;; [unrolled: 1-line block ×3, first 2 shown]
	v_dual_add_f32 v82, v91, v82 :: v_dual_fmamk_f32 v91, v160, 0xbf1a4643, v94
	v_dual_mul_f32 v106, 0xbf763a35, v231 :: v_dual_mul_f32 v107, 0xbf763a35, v232
	v_fmac_f32_e32 v79, 0x3dbcf732, v69
	s_delay_alu instid0(VALU_DEP_3) | instskip(SKIP_1) | instid1(VALU_DEP_1)
	v_add_f32_e32 v83, v91, v83
	v_fma_f32 v91, 0xbf7ba420, v162, -v95
	v_add_f32_e32 v82, v91, v82
	v_fmamk_f32 v91, v175, 0xbf7ba420, v139
	s_delay_alu instid0(VALU_DEP_1) | instskip(SKIP_1) | instid1(VALU_DEP_1)
	v_add_f32_e32 v83, v91, v83
	v_fma_f32 v91, 0xbf59a7d5, v184, -v140
	v_add_f32_e32 v82, v91, v82
	v_fmamk_f32 v91, v187, 0xbf59a7d5, v141
	s_delay_alu instid0(VALU_DEP_1) | instskip(SKIP_1) | instid1(VALU_DEP_1)
	;; [unrolled: 5-line block ×3, first 2 shown]
	v_add_f32_e32 v83, v91, v83
	v_fma_f32 v91, 0x3ee437d1, v215, -v153
	v_dual_fmac_f32 v153, 0x3ee437d1, v215 :: v_dual_add_f32 v82, v91, v82
	v_fmamk_f32 v91, v217, 0x3ee437d1, v154
	s_delay_alu instid0(VALU_DEP_1) | instskip(SKIP_1) | instid1(VALU_DEP_1)
	v_add_f32_e32 v83, v91, v83
	v_fma_f32 v91, 0x3f6eb680, v224, -v155
	v_dual_fmac_f32 v155, 0x3f6eb680, v224 :: v_dual_add_f32 v82, v91, v82
	v_fmamk_f32 v91, v225, 0x3f6eb680, v156
	s_delay_alu instid0(VALU_DEP_1) | instskip(SKIP_3) | instid1(VALU_DEP_3)
	v_add_f32_e32 v83, v91, v83
	v_fma_f32 v91, 0xbf1a4643, v69, -v158
	v_fmac_f32_e32 v158, 0xbf1a4643, v69
	v_fmac_f32_e32 v95, 0xbf7ba420, v162
	v_add_f32_e32 v91, v91, v211
	s_delay_alu instid0(VALU_DEP_1) | instskip(NEXT) | instid1(VALU_DEP_1)
	v_dual_add_f32 v91, v164, v91 :: v_dual_mul_f32 v164, 0x3e3c28d5, v196
	v_fmamk_f32 v165, v160, 0xbf7ba420, v164
	s_delay_alu instid0(VALU_DEP_1) | instskip(NEXT) | instid1(VALU_DEP_1)
	v_dual_add_f32 v92, v165, v92 :: v_dual_mul_f32 v165, 0x3f763a35, v197
	v_fma_f32 v166, 0xbe8c1d8e, v162, -v165
	s_delay_alu instid0(VALU_DEP_1) | instskip(NEXT) | instid1(VALU_DEP_1)
	v_dual_add_f32 v91, v166, v91 :: v_dual_mul_f32 v166, 0x3f763a35, v200
	v_fmamk_f32 v167, v175, 0xbe8c1d8e, v166
	s_delay_alu instid0(VALU_DEP_1) | instskip(NEXT) | instid1(VALU_DEP_1)
	v_dual_add_f32 v92, v167, v92 :: v_dual_mul_f32 v167, 0x3f2c7751, v209
	v_fma_f32 v168, 0x3f3d2fb0, v184, -v167
	s_delay_alu instid0(VALU_DEP_1) | instskip(SKIP_1) | instid1(VALU_DEP_2)
	v_dual_add_f32 v91, v168, v91 :: v_dual_mul_f32 v168, 0x3f2c7751, v212
	v_fmac_f32_e32 v167, 0x3f3d2fb0, v184
	v_fmamk_f32 v169, v187, 0x3f3d2fb0, v168
	s_delay_alu instid0(VALU_DEP_1) | instskip(NEXT) | instid1(VALU_DEP_1)
	v_dual_add_f32 v92, v169, v92 :: v_dual_mul_f32 v169, 0xbeb8f4ab, v221
	v_fma_f32 v170, 0x3f6eb680, v202, -v169
	s_delay_alu instid0(VALU_DEP_1) | instskip(NEXT) | instid1(VALU_DEP_1)
	v_dual_add_f32 v91, v170, v91 :: v_dual_mul_f32 v170, 0xbeb8f4ab, v222
	v_fmamk_f32 v171, v203, 0x3f6eb680, v170
	s_delay_alu instid0(VALU_DEP_1) | instskip(NEXT) | instid1(VALU_DEP_1)
	v_dual_add_f32 v92, v171, v92 :: v_dual_mul_f32 v171, 0xbf7ee86f, v227
	v_fma_f32 v172, 0x3dbcf732, v215, -v171
	s_delay_alu instid0(VALU_DEP_1) | instskip(NEXT) | instid1(VALU_DEP_1)
	v_dual_add_f32 v91, v172, v91 :: v_dual_mul_f32 v172, 0xbf7ee86f, v228
	v_fmamk_f32 v210, v217, 0x3dbcf732, v172
	s_delay_alu instid0(VALU_DEP_1) | instskip(SKIP_1) | instid1(VALU_DEP_1)
	v_add_f32_e32 v92, v210, v92
	v_mul_f32_e32 v210, 0xbf06c442, v231
	v_fma_f32 v211, 0xbf59a7d5, v224, -v210
	s_delay_alu instid0(VALU_DEP_1) | instskip(SKIP_1) | instid1(VALU_DEP_1)
	v_add_f32_e32 v91, v211, v91
	v_mul_f32_e32 v211, 0xbf06c442, v232
	v_dual_fmac_f32 v210, 0xbf59a7d5, v224 :: v_dual_fmamk_f32 v213, v225, 0xbf59a7d5, v211
	s_delay_alu instid0(VALU_DEP_1) | instskip(SKIP_2) | instid1(VALU_DEP_1)
	v_dual_add_f32 v92, v213, v92 :: v_dual_mul_f32 v213, 0xbe3c28d5, v191
	ds_store_2addr_b64 v74, v[82:83], v[91:92] offset0:110 offset1:229
	v_fma_f32 v82, 0xbf7ba420, v69, -v213
	v_add_f32_e32 v82, v82, v208
	v_mul_f32_e32 v208, 0xbe3c28d5, v192
	v_fmac_f32_e32 v171, 0x3dbcf732, v215
	s_delay_alu instid0(VALU_DEP_2) | instskip(NEXT) | instid1(VALU_DEP_1)
	v_fmamk_f32 v83, v77, 0xbf7ba420, v208
	v_add_f32_e32 v83, v83, v207
	v_mul_f32_e32 v207, 0x3f763a35, v193
	s_delay_alu instid0(VALU_DEP_1) | instskip(NEXT) | instid1(VALU_DEP_1)
	v_fma_f32 v91, 0xbe8c1d8e, v86, -v207
	v_dual_add_f32 v82, v91, v82 :: v_dual_fmamk_f32 v91, v160, 0xbe8c1d8e, v214
	s_delay_alu instid0(VALU_DEP_1) | instskip(SKIP_1) | instid1(VALU_DEP_1)
	v_add_f32_e32 v83, v91, v83
	v_fma_f32 v91, 0x3f6eb680, v162, -v219
	v_add_f32_e32 v82, v91, v82
	v_fmamk_f32 v91, v175, 0x3f6eb680, v220
	v_fmac_f32_e32 v213, 0xbf7ba420, v69
	s_delay_alu instid0(VALU_DEP_2) | instskip(SKIP_1) | instid1(VALU_DEP_1)
	v_add_f32_e32 v83, v91, v83
	v_fma_f32 v91, 0x3ee437d1, v184, -v229
	v_add_f32_e32 v82, v91, v82
	v_fmamk_f32 v91, v187, 0x3ee437d1, v230
	s_delay_alu instid0(VALU_DEP_1) | instskip(SKIP_1) | instid1(VALU_DEP_1)
	v_add_f32_e32 v83, v91, v83
	v_fma_f32 v91, 0xbf59a7d5, v202, -v233
	v_add_f32_e32 v82, v91, v82
	v_fmamk_f32 v91, v203, 0xbf59a7d5, v234
	v_fmac_f32_e32 v207, 0xbe8c1d8e, v86
	s_delay_alu instid0(VALU_DEP_2) | instskip(SKIP_1) | instid1(VALU_DEP_1)
	v_add_f32_e32 v83, v91, v83
	v_fma_f32 v91, 0xbf1a4643, v215, -v235
	v_dual_add_f32 v82, v91, v82 :: v_dual_fmamk_f32 v91, v217, 0xbf1a4643, v236
	v_fmac_f32_e32 v219, 0x3f6eb680, v162
	s_delay_alu instid0(VALU_DEP_2) | instskip(SKIP_1) | instid1(VALU_DEP_1)
	v_add_f32_e32 v83, v91, v83
	v_fma_f32 v91, 0x3f3d2fb0, v224, -v237
	v_dual_add_f32 v82, v91, v82 :: v_dual_fmamk_f32 v91, v225, 0x3f3d2fb0, v238
	v_fmac_f32_e32 v229, 0x3ee437d1, v184
	s_delay_alu instid0(VALU_DEP_2) | instskip(SKIP_1) | instid1(VALU_DEP_1)
	v_add_f32_e32 v83, v91, v83
	v_fma_f32 v91, 0xbf59a7d5, v69, -v239
	v_dual_add_f32 v91, v91, v206 :: v_dual_mul_f32 v206, 0x3f06c442, v192
	s_delay_alu instid0(VALU_DEP_1) | instskip(NEXT) | instid1(VALU_DEP_1)
	v_fmamk_f32 v92, v77, 0xbf59a7d5, v206
	v_add_f32_e32 v92, v92, v205
	v_mul_f32_e32 v205, 0x3f2c7751, v193
	s_delay_alu instid0(VALU_DEP_1) | instskip(NEXT) | instid1(VALU_DEP_1)
	v_fma_f32 v240, 0x3f3d2fb0, v86, -v205
	v_dual_add_f32 v91, v240, v91 :: v_dual_mul_f32 v240, 0x3f2c7751, v196
	v_fmac_f32_e32 v237, 0x3f3d2fb0, v224
	s_delay_alu instid0(VALU_DEP_2) | instskip(NEXT) | instid1(VALU_DEP_1)
	v_fmamk_f32 v241, v160, 0x3f3d2fb0, v240
	v_dual_add_f32 v92, v241, v92 :: v_dual_mul_f32 v241, 0xbf65296c, v197
	s_delay_alu instid0(VALU_DEP_1) | instskip(NEXT) | instid1(VALU_DEP_1)
	v_fma_f32 v242, 0x3ee437d1, v162, -v241
	v_dual_add_f32 v91, v242, v91 :: v_dual_mul_f32 v242, 0xbf65296c, v200
	s_delay_alu instid0(VALU_DEP_1) | instskip(NEXT) | instid1(VALU_DEP_1)
	v_fmamk_f32 v243, v175, 0x3ee437d1, v242
	v_dual_add_f32 v92, v243, v92 :: v_dual_mul_f32 v243, 0xbe3c28d5, v209
	v_fmac_f32_e32 v233, 0xbf59a7d5, v202
	s_delay_alu instid0(VALU_DEP_2) | instskip(SKIP_1) | instid1(VALU_DEP_2)
	v_fma_f32 v244, 0xbf7ba420, v184, -v243
	v_fmac_f32_e32 v243, 0xbf7ba420, v184
	v_dual_add_f32 v91, v244, v91 :: v_dual_mul_f32 v244, 0xbe3c28d5, v212
	s_delay_alu instid0(VALU_DEP_1) | instskip(NEXT) | instid1(VALU_DEP_1)
	v_fmamk_f32 v245, v187, 0xbf7ba420, v244
	v_dual_add_f32 v92, v245, v92 :: v_dual_mul_f32 v245, 0x3f7ee86f, v221
	s_delay_alu instid0(VALU_DEP_1) | instskip(NEXT) | instid1(VALU_DEP_1)
	v_fma_f32 v246, 0x3dbcf732, v202, -v245
	v_dual_add_f32 v91, v246, v91 :: v_dual_mul_f32 v246, 0x3f7ee86f, v222
	s_delay_alu instid0(VALU_DEP_1) | instskip(NEXT) | instid1(VALU_DEP_1)
	v_fmamk_f32 v247, v203, 0x3dbcf732, v246
	v_dual_add_f32 v92, v247, v92 :: v_dual_mul_f32 v247, 0xbeb8f4ab, v227
	v_fmac_f32_e32 v235, 0xbf1a4643, v215
	s_delay_alu instid0(VALU_DEP_2) | instskip(NEXT) | instid1(VALU_DEP_1)
	v_fma_f32 v248, 0x3f6eb680, v215, -v247
	v_dual_add_f32 v91, v248, v91 :: v_dual_mul_f32 v248, 0xbeb8f4ab, v228
	s_delay_alu instid0(VALU_DEP_1) | instskip(NEXT) | instid1(VALU_DEP_1)
	v_fmamk_f32 v249, v217, 0x3f6eb680, v248
	v_dual_add_f32 v92, v249, v92 :: v_dual_mul_f32 v249, 0xbf4c4adb, v231
	s_delay_alu instid0(VALU_DEP_1) | instskip(NEXT) | instid1(VALU_DEP_1)
	v_fma_f32 v250, 0xbf1a4643, v224, -v249
	v_dual_add_f32 v91, v250, v91 :: v_dual_mul_f32 v250, 0xbf4c4adb, v232
	s_delay_alu instid0(VALU_DEP_1) | instskip(NEXT) | instid1(VALU_DEP_1)
	v_fmamk_f32 v251, v225, 0xbf1a4643, v250
	v_dual_add_f32 v92, v251, v92 :: v_dual_mul_f32 v251, 0x3f763a35, v191
	ds_store_2addr_b64 v76, v[82:83], v[91:92] offset0:92 offset1:211
	v_fma_f32 v82, 0xbe8c1d8e, v69, -v251
	v_fmamk_f32 v92, v77, 0x3ee437d1, v97
	s_delay_alu instid0(VALU_DEP_2) | instskip(NEXT) | instid1(VALU_DEP_2)
	v_dual_add_f32 v82, v82, v199 :: v_dual_mul_f32 v199, 0x3f763a35, v192
	v_add_f32_e32 v92, v92, v194
	v_mul_f32_e32 v194, 0xbf7ee86f, v193
	s_delay_alu instid0(VALU_DEP_3) | instskip(NEXT) | instid1(VALU_DEP_1)
	v_fmamk_f32 v83, v77, 0xbe8c1d8e, v199
	v_dual_add_f32 v83, v83, v198 :: v_dual_mul_f32 v198, 0xbeb8f4ab, v193
	v_fmac_f32_e32 v247, 0x3f6eb680, v215
	s_delay_alu instid0(VALU_DEP_2) | instskip(SKIP_1) | instid1(VALU_DEP_2)
	v_fma_f32 v91, 0x3f6eb680, v86, -v198
	v_fmac_f32_e32 v198, 0x3f6eb680, v86
	v_dual_add_f32 v82, v91, v82 :: v_dual_fmamk_f32 v91, v160, 0x3f6eb680, v252
	v_fmac_f32_e32 v239, 0xbf59a7d5, v69
	s_delay_alu instid0(VALU_DEP_2) | instskip(SKIP_1) | instid1(VALU_DEP_1)
	v_add_f32_e32 v83, v91, v83
	v_fma_f32 v91, 0xbf59a7d5, v162, -v253
	v_add_f32_e32 v82, v91, v82
	v_fmamk_f32 v91, v175, 0xbf59a7d5, v254
	v_fmac_f32_e32 v205, 0x3f3d2fb0, v86
	s_delay_alu instid0(VALU_DEP_2) | instskip(SKIP_1) | instid1(VALU_DEP_1)
	v_add_f32_e32 v83, v91, v83
	v_fma_f32 v91, 0x3dbcf732, v184, -v255
	v_add_f32_e32 v82, v91, v82
	v_fmamk_f32 v91, v187, 0x3dbcf732, v147
	s_delay_alu instid0(VALU_DEP_1) | instskip(SKIP_1) | instid1(VALU_DEP_1)
	v_add_f32_e32 v83, v91, v83
	v_fma_f32 v91, 0x3f3d2fb0, v202, -v148
	v_add_f32_e32 v82, v91, v82
	v_fmamk_f32 v91, v203, 0x3f3d2fb0, v146
	v_fmac_f32_e32 v241, 0x3ee437d1, v162
	s_delay_alu instid0(VALU_DEP_2) | instskip(SKIP_1) | instid1(VALU_DEP_1)
	v_add_f32_e32 v83, v91, v83
	v_fma_f32 v91, 0xbf7ba420, v215, -v108
	v_dual_add_f32 v82, v91, v82 :: v_dual_fmamk_f32 v91, v217, 0xbf7ba420, v149
	s_delay_alu instid0(VALU_DEP_1) | instskip(SKIP_1) | instid1(VALU_DEP_1)
	v_add_f32_e32 v83, v91, v83
	v_fma_f32 v91, 0x3ee437d1, v224, -v151
	v_dual_add_f32 v82, v91, v82 :: v_dual_fmamk_f32 v91, v225, 0x3ee437d1, v150
	s_delay_alu instid0(VALU_DEP_1) | instskip(SKIP_1) | instid1(VALU_DEP_1)
	v_add_f32_e32 v83, v91, v83
	v_fma_f32 v91, 0x3ee437d1, v69, -v96
	v_dual_fmac_f32 v96, 0x3ee437d1, v69 :: v_dual_add_f32 v91, v91, v195
	v_fma_f32 v195, 0x3dbcf732, v86, -v194
	s_delay_alu instid0(VALU_DEP_1) | instskip(SKIP_1) | instid1(VALU_DEP_1)
	v_dual_fmac_f32 v194, 0x3dbcf732, v86 :: v_dual_add_f32 v91, v195, v91
	v_mul_f32_e32 v195, 0xbf7ee86f, v196
	v_fmamk_f32 v70, v160, 0x3dbcf732, v195
	s_delay_alu instid0(VALU_DEP_1) | instskip(SKIP_2) | instid1(VALU_DEP_2)
	v_add_f32_e32 v70, v70, v92
	v_fma_f32 v92, 0xbf1a4643, v162, -v98
	v_dual_fmac_f32 v98, 0xbf1a4643, v162 :: v_dual_fmac_f32 v249, 0xbf1a4643, v224
	v_dual_add_f32 v91, v92, v91 :: v_dual_fmamk_f32 v92, v175, 0xbf1a4643, v99
	s_delay_alu instid0(VALU_DEP_1) | instskip(SKIP_2) | instid1(VALU_DEP_2)
	v_add_f32_e32 v70, v92, v70
	v_fma_f32 v92, 0x3f6eb680, v184, -v100
	v_fmac_f32_e32 v251, 0xbe8c1d8e, v69
	v_dual_fmac_f32 v100, 0x3f6eb680, v184 :: v_dual_add_f32 v91, v92, v91
	v_fmamk_f32 v92, v187, 0x3f6eb680, v101
	s_delay_alu instid0(VALU_DEP_1) | instskip(SKIP_1) | instid1(VALU_DEP_1)
	v_add_f32_e32 v70, v92, v70
	v_fma_f32 v92, 0xbf7ba420, v202, -v102
	v_dual_fmac_f32 v102, 0xbf7ba420, v202 :: v_dual_add_f32 v91, v92, v91
	v_fmamk_f32 v92, v203, 0xbf7ba420, v103
	s_delay_alu instid0(VALU_DEP_1) | instskip(SKIP_2) | instid1(VALU_DEP_2)
	v_add_f32_e32 v70, v92, v70
	v_fma_f32 v92, 0x3f3d2fb0, v215, -v104
	v_fmac_f32_e32 v104, 0x3f3d2fb0, v215
	v_dual_add_f32 v91, v92, v91 :: v_dual_fmamk_f32 v92, v217, 0x3f3d2fb0, v105
	s_delay_alu instid0(VALU_DEP_1) | instskip(SKIP_4) | instid1(VALU_DEP_4)
	v_add_f32_e32 v70, v92, v70
	v_fma_f32 v92, 0xbe8c1d8e, v224, -v106
	v_fmac_f32_e32 v253, 0xbf59a7d5, v162
	v_fmac_f32_e32 v106, 0xbe8c1d8e, v224
	v_fmac_f32_e32 v108, 0xbf7ba420, v215
	v_dual_add_f32 v91, v92, v91 :: v_dual_fmamk_f32 v92, v225, 0xbe8c1d8e, v107
	s_delay_alu instid0(VALU_DEP_1)
	v_add_f32_e32 v92, v92, v70
	v_mul_f32_e32 v70, 0x3eb8f4ab, v191
	ds_store_2addr_b64 v80, v[82:83], v[91:92] offset0:74 offset1:193
	v_mul_f32_e32 v91, 0x3eb8f4ab, v192
	v_fma_f32 v82, 0x3f6eb680, v69, -v70
	v_mul_f32_e32 v92, 0xbf06c442, v193
	v_fmac_f32_e32 v70, 0x3f6eb680, v69
	v_fma_f32 v69, 0x3f3d2fb0, v77, -v78
	s_delay_alu instid0(VALU_DEP_4) | instskip(SKIP_1) | instid1(VALU_DEP_4)
	v_dual_fmamk_f32 v83, v77, 0x3f6eb680, v91 :: v_dual_add_f32 v82, v82, v190
	v_fma_f32 v91, 0x3f6eb680, v77, -v91
	v_dual_add_f32 v70, v70, v186 :: v_dual_fmac_f32 v255, 0x3dbcf732, v184
	s_delay_alu instid0(VALU_DEP_3) | instskip(SKIP_1) | instid1(VALU_DEP_4)
	v_add_f32_e32 v83, v83, v189
	v_fma_f32 v189, 0xbf59a7d5, v86, -v92
	v_dual_add_f32 v91, v91, v185 :: v_dual_fmac_f32 v92, 0xbf59a7d5, v86
	v_add_f32_e32 v69, v69, v71
	v_fma_f32 v71, 0x3dbcf732, v175, -v176
	s_delay_alu instid0(VALU_DEP_4) | instskip(NEXT) | instid1(VALU_DEP_4)
	v_dual_add_f32 v82, v189, v82 :: v_dual_mul_f32 v189, 0xbf06c442, v196
	v_add_f32_e32 v70, v92, v70
	s_delay_alu instid0(VALU_DEP_2) | instskip(SKIP_1) | instid1(VALU_DEP_2)
	v_fmamk_f32 v190, v160, 0xbf59a7d5, v189
	v_fma_f32 v92, 0xbf59a7d5, v160, -v189
	v_dual_add_f32 v83, v190, v83 :: v_dual_mul_f32 v190, 0x3f2c7751, v197
	s_delay_alu instid0(VALU_DEP_2) | instskip(NEXT) | instid1(VALU_DEP_2)
	v_add_f32_e32 v91, v92, v91
	v_fma_f32 v191, 0x3f3d2fb0, v162, -v190
	v_fmac_f32_e32 v190, 0x3f3d2fb0, v162
	s_delay_alu instid0(VALU_DEP_2) | instskip(NEXT) | instid1(VALU_DEP_2)
	v_dual_add_f32 v82, v191, v82 :: v_dual_mul_f32 v191, 0x3f2c7751, v200
	v_add_f32_e32 v70, v190, v70
	s_delay_alu instid0(VALU_DEP_2) | instskip(SKIP_1) | instid1(VALU_DEP_2)
	v_fmamk_f32 v192, v175, 0x3f3d2fb0, v191
	v_fma_f32 v92, 0x3f3d2fb0, v175, -v191
	v_dual_add_f32 v83, v192, v83 :: v_dual_mul_f32 v192, 0xbf4c4adb, v209
	s_delay_alu instid0(VALU_DEP_2) | instskip(NEXT) | instid1(VALU_DEP_2)
	v_add_f32_e32 v91, v92, v91
	v_fma_f32 v193, 0xbf1a4643, v184, -v192
	v_fmac_f32_e32 v192, 0xbf1a4643, v184
	s_delay_alu instid0(VALU_DEP_2) | instskip(NEXT) | instid1(VALU_DEP_2)
	v_dual_add_f32 v82, v193, v82 :: v_dual_mul_f32 v193, 0xbf4c4adb, v212
	v_add_f32_e32 v70, v192, v70
	s_delay_alu instid0(VALU_DEP_2) | instskip(SKIP_1) | instid1(VALU_DEP_2)
	v_fmamk_f32 v196, v187, 0xbf1a4643, v193
	v_fma_f32 v92, 0xbf1a4643, v187, -v193
	v_dual_add_f32 v83, v196, v83 :: v_dual_mul_f32 v196, 0x3f65296c, v221
	v_mul_f32_e32 v221, 0x3f7ee86f, v232
	s_delay_alu instid0(VALU_DEP_3) | instskip(SKIP_1) | instid1(VALU_DEP_4)
	v_add_f32_e32 v91, v92, v91
	v_fmac_f32_e32 v151, 0x3ee437d1, v224
	v_fma_f32 v197, 0x3ee437d1, v202, -v196
	s_delay_alu instid0(VALU_DEP_4) | instskip(SKIP_1) | instid1(VALU_DEP_3)
	v_fma_f32 v185, 0x3dbcf732, v225, -v221
	v_fmac_f32_e32 v196, 0x3ee437d1, v202
	v_add_f32_e32 v82, v197, v82
	v_mul_f32_e32 v197, 0x3f65296c, v222
	s_delay_alu instid0(VALU_DEP_3) | instskip(NEXT) | instid1(VALU_DEP_2)
	v_add_f32_e32 v70, v196, v70
	v_fmamk_f32 v200, v203, 0x3ee437d1, v197
	v_fma_f32 v92, 0x3ee437d1, v203, -v197
	s_delay_alu instid0(VALU_DEP_2) | instskip(SKIP_1) | instid1(VALU_DEP_3)
	v_add_f32_e32 v83, v200, v83
	v_mul_f32_e32 v200, 0xbf763a35, v227
	v_add_f32_e32 v91, v92, v91
	s_delay_alu instid0(VALU_DEP_2) | instskip(NEXT) | instid1(VALU_DEP_1)
	v_fma_f32 v209, 0xbe8c1d8e, v215, -v200
	v_dual_add_f32 v82, v209, v82 :: v_dual_mul_f32 v209, 0xbf763a35, v228
	s_delay_alu instid0(VALU_DEP_1) | instskip(SKIP_1) | instid1(VALU_DEP_2)
	v_fmamk_f32 v212, v217, 0xbe8c1d8e, v209
	v_fma_f32 v92, 0xbe8c1d8e, v217, -v209
	v_add_f32_e32 v83, v212, v83
	v_mul_f32_e32 v212, 0x3f7ee86f, v231
	s_delay_alu instid0(VALU_DEP_3) | instskip(NEXT) | instid1(VALU_DEP_2)
	v_add_f32_e32 v92, v92, v91
	v_fma_f32 v222, 0x3dbcf732, v224, -v212
	v_fmac_f32_e32 v212, 0x3dbcf732, v224
	v_fmac_f32_e32 v200, 0xbe8c1d8e, v215
	s_delay_alu instid0(VALU_DEP_4) | instskip(NEXT) | instid1(VALU_DEP_4)
	v_add_f32_e32 v92, v185, v92
	v_add_f32_e32 v82, v222, v82
	v_fmamk_f32 v222, v225, 0x3dbcf732, v221
	s_delay_alu instid0(VALU_DEP_1) | instskip(NEXT) | instid1(VALU_DEP_1)
	v_dual_add_f32 v70, v200, v70 :: v_dual_add_f32 v83, v222, v83
	v_add_f32_e32 v91, v212, v70
	v_add_f32_e32 v70, v251, v182
	ds_store_2addr_b64 v89, v[82:83], v[91:92] offset0:56 offset1:175
	v_fma_f32 v82, 0xbe8c1d8e, v77, -v199
	v_fma_f32 v83, 0x3f6eb680, v160, -v252
	;; [unrolled: 1-line block ×3, first 2 shown]
	v_add_f32_e32 v70, v198, v70
	v_fma_f32 v91, 0x3ee437d1, v225, -v150
	v_add_f32_e32 v82, v82, v181
	s_delay_alu instid0(VALU_DEP_1) | instskip(SKIP_1) | instid1(VALU_DEP_1)
	v_add_f32_e32 v82, v83, v82
	v_fma_f32 v83, 0xbf59a7d5, v175, -v254
	v_add_f32_e32 v82, v83, v82
	v_fma_f32 v83, 0x3dbcf732, v187, -v147
	s_delay_alu instid0(VALU_DEP_1) | instskip(SKIP_1) | instid1(VALU_DEP_1)
	v_add_f32_e32 v82, v83, v82
	v_fma_f32 v83, 0x3f3d2fb0, v203, -v146
	v_add_f32_e32 v82, v83, v82
	v_fma_f32 v83, 0xbf7ba420, v217, -v149
	s_delay_alu instid0(VALU_DEP_1) | instskip(SKIP_1) | instid1(VALU_DEP_2)
	v_add_f32_e32 v83, v83, v82
	v_dual_add_f32 v70, v253, v70 :: v_dual_add_nc_u32 v253, 0x2c00, v145
	v_add_f32_e32 v83, v91, v83
	v_fma_f32 v91, 0x3ee437d1, v77, -v97
	s_delay_alu instid0(VALU_DEP_1) | instskip(NEXT) | instid1(VALU_DEP_1)
	v_dual_fmac_f32 v148, 0x3f3d2fb0, v202 :: v_dual_add_f32 v91, v91, v179
	v_add_f32_e32 v91, v92, v91
	v_fma_f32 v92, 0xbf1a4643, v175, -v99
	s_delay_alu instid0(VALU_DEP_1) | instskip(NEXT) | instid1(VALU_DEP_1)
	v_dual_add_f32 v70, v255, v70 :: v_dual_add_f32 v91, v92, v91
	v_add_f32_e32 v70, v148, v70
	v_fma_f32 v92, 0x3f6eb680, v187, -v101
	s_delay_alu instid0(VALU_DEP_2) | instskip(NEXT) | instid1(VALU_DEP_2)
	v_add_f32_e32 v70, v108, v70
	v_add_f32_e32 v91, v92, v91
	v_fma_f32 v92, 0xbf7ba420, v203, -v103
	s_delay_alu instid0(VALU_DEP_3) | instskip(SKIP_1) | instid1(VALU_DEP_3)
	v_add_f32_e32 v82, v151, v70
	v_add_f32_e32 v70, v96, v180
	v_add_f32_e32 v91, v92, v91
	v_fma_f32 v92, 0x3f3d2fb0, v217, -v105
	v_fma_f32 v96, 0xbe8c1d8e, v225, -v107
	s_delay_alu instid0(VALU_DEP_4) | instskip(NEXT) | instid1(VALU_DEP_3)
	v_add_f32_e32 v70, v194, v70
	v_add_f32_e32 v92, v92, v91
	s_delay_alu instid0(VALU_DEP_2) | instskip(NEXT) | instid1(VALU_DEP_2)
	v_add_f32_e32 v70, v98, v70
	v_add_f32_e32 v92, v96, v92
	v_fma_f32 v96, 0xbf1a4643, v225, -v250
	s_delay_alu instid0(VALU_DEP_3) | instskip(NEXT) | instid1(VALU_DEP_1)
	v_add_f32_e32 v70, v100, v70
	v_add_f32_e32 v70, v102, v70
	s_delay_alu instid0(VALU_DEP_1) | instskip(NEXT) | instid1(VALU_DEP_1)
	v_add_f32_e32 v70, v104, v70
	v_add_f32_e32 v91, v106, v70
	ds_store_2addr_b64 v81, v[91:92], v[82:83] offset0:38 offset1:157
	v_fma_f32 v82, 0xbf7ba420, v77, -v208
	v_fma_f32 v83, 0xbe8c1d8e, v160, -v214
	;; [unrolled: 1-line block ×4, first 2 shown]
	s_delay_alu instid0(VALU_DEP_4) | instskip(NEXT) | instid1(VALU_DEP_1)
	v_add_f32_e32 v82, v82, v177
	v_add_f32_e32 v82, v83, v82
	v_fma_f32 v83, 0x3f6eb680, v175, -v220
	s_delay_alu instid0(VALU_DEP_1) | instskip(SKIP_1) | instid1(VALU_DEP_1)
	v_add_f32_e32 v82, v83, v82
	v_fma_f32 v83, 0x3ee437d1, v187, -v230
	v_add_f32_e32 v82, v83, v82
	v_fma_f32 v83, 0xbf59a7d5, v203, -v234
	s_delay_alu instid0(VALU_DEP_1) | instskip(SKIP_1) | instid1(VALU_DEP_1)
	v_add_f32_e32 v82, v83, v82
	v_fma_f32 v83, 0xbf1a4643, v217, -v236
	v_add_f32_e32 v83, v83, v82
	s_delay_alu instid0(VALU_DEP_1) | instskip(SKIP_1) | instid1(VALU_DEP_1)
	v_add_f32_e32 v83, v91, v83
	v_fma_f32 v91, 0xbf59a7d5, v77, -v206
	v_add_f32_e32 v91, v91, v173
	s_delay_alu instid0(VALU_DEP_1) | instskip(SKIP_1) | instid1(VALU_DEP_1)
	v_add_f32_e32 v91, v92, v91
	v_fma_f32 v92, 0x3ee437d1, v175, -v242
	v_add_f32_e32 v91, v92, v91
	v_fma_f32 v92, 0xbf7ba420, v187, -v244
	s_delay_alu instid0(VALU_DEP_1) | instskip(SKIP_1) | instid1(VALU_DEP_1)
	v_add_f32_e32 v91, v92, v91
	v_fma_f32 v92, 0x3dbcf732, v203, -v246
	v_dual_add_f32 v70, v213, v178 :: v_dual_add_f32 v91, v92, v91
	s_delay_alu instid0(VALU_DEP_1) | instskip(SKIP_2) | instid1(VALU_DEP_3)
	v_add_f32_e32 v70, v207, v70
	v_fma_f32 v92, 0x3f6eb680, v217, -v248
	v_fmac_f32_e32 v245, 0x3dbcf732, v202
	v_add_f32_e32 v70, v219, v70
	s_delay_alu instid0(VALU_DEP_3) | instskip(NEXT) | instid1(VALU_DEP_2)
	v_add_f32_e32 v92, v92, v91
	v_add_f32_e32 v70, v229, v70
	s_delay_alu instid0(VALU_DEP_2) | instskip(NEXT) | instid1(VALU_DEP_2)
	v_add_f32_e32 v92, v96, v92
	v_add_f32_e32 v70, v233, v70
	s_delay_alu instid0(VALU_DEP_1) | instskip(NEXT) | instid1(VALU_DEP_1)
	v_add_f32_e32 v70, v235, v70
	v_add_f32_e32 v82, v237, v70
	;; [unrolled: 1-line block ×3, first 2 shown]
	s_delay_alu instid0(VALU_DEP_1) | instskip(NEXT) | instid1(VALU_DEP_1)
	v_add_f32_e32 v70, v205, v70
	v_add_f32_e32 v70, v241, v70
	s_delay_alu instid0(VALU_DEP_1) | instskip(NEXT) | instid1(VALU_DEP_1)
	v_add_f32_e32 v70, v243, v70
	v_add_f32_e32 v70, v245, v70
	s_delay_alu instid0(VALU_DEP_1) | instskip(NEXT) | instid1(VALU_DEP_1)
	v_add_f32_e32 v70, v247, v70
	v_dual_add_f32 v91, v249, v70 :: v_dual_add_f32 v70, v79, v152
	v_fma_f32 v79, 0x3dbcf732, v77, -v87
	ds_store_2addr_b64 v253, v[91:92], v[82:83] offset0:20 offset1:139
	v_fma_f32 v82, 0xbf1a4643, v160, -v94
	v_add_f32_e32 v79, v79, v144
	v_fma_f32 v83, 0x3f6eb680, v225, -v156
	s_delay_alu instid0(VALU_DEP_2) | instskip(SKIP_1) | instid1(VALU_DEP_1)
	v_add_f32_e32 v79, v82, v79
	v_fma_f32 v82, 0xbf7ba420, v175, -v139
	v_add_f32_e32 v79, v82, v79
	v_fma_f32 v82, 0xbf59a7d5, v187, -v141
	s_delay_alu instid0(VALU_DEP_1) | instskip(SKIP_1) | instid1(VALU_DEP_1)
	v_add_f32_e32 v79, v82, v79
	v_fma_f32 v82, 0xbe8c1d8e, v203, -v143
	v_add_f32_e32 v79, v82, v79
	v_fma_f32 v82, 0x3ee437d1, v217, -v154
	s_delay_alu instid0(VALU_DEP_1) | instskip(NEXT) | instid1(VALU_DEP_1)
	v_add_f32_e32 v79, v82, v79
	v_add_f32_e32 v83, v83, v79
	v_fma_f32 v79, 0xbf1a4643, v77, -v159
	scratch_load_b32 v77, off, off offset:76 th:TH_LOAD_LU ; 4-byte Folded Reload
	v_fmac_f32_e32 v163, 0xbf7ba420, v86
	v_add_f32_e32 v79, v79, v84
	v_fma_f32 v84, 0xbf7ba420, v160, -v164
	s_delay_alu instid0(VALU_DEP_1) | instskip(SKIP_1) | instid1(VALU_DEP_1)
	v_add_f32_e32 v79, v84, v79
	v_fma_f32 v84, 0xbe8c1d8e, v175, -v166
	v_add_f32_e32 v79, v84, v79
	v_fma_f32 v84, 0x3f3d2fb0, v187, -v168
	s_delay_alu instid0(VALU_DEP_1) | instskip(SKIP_1) | instid1(VALU_DEP_1)
	v_dual_add_f32 v70, v93, v70 :: v_dual_add_f32 v79, v84, v79
	v_fma_f32 v84, 0x3f6eb680, v203, -v170
	v_dual_add_f32 v70, v95, v70 :: v_dual_add_f32 v79, v84, v79
	v_fma_f32 v84, 0x3dbcf732, v217, -v172
	s_delay_alu instid0(VALU_DEP_1) | instskip(NEXT) | instid1(VALU_DEP_1)
	v_dual_fmac_f32 v140, 0xbf59a7d5, v184 :: v_dual_add_f32 v79, v84, v79
	v_add_f32_e32 v70, v140, v70
	v_fmac_f32_e32 v142, 0xbe8c1d8e, v202
	s_delay_alu instid0(VALU_DEP_1) | instskip(NEXT) | instid1(VALU_DEP_1)
	v_add_f32_e32 v70, v142, v70
	v_add_f32_e32 v70, v153, v70
	s_delay_alu instid0(VALU_DEP_1) | instskip(SKIP_3) | instid1(VALU_DEP_1)
	v_add_f32_e32 v82, v155, v70
	v_add_f32_e32 v70, v158, v85
	v_fma_f32 v85, 0xbf59a7d5, v225, -v211
	s_wait_loadcnt 0x0
	v_dual_add_f32 v85, v85, v79 :: v_dual_add_f32 v68, v68, v77
	s_delay_alu instid0(VALU_DEP_3) | instskip(NEXT) | instid1(VALU_DEP_2)
	v_add_f32_e32 v70, v163, v70
	v_dual_fmac_f32 v165, 0xbe8c1d8e, v162 :: v_dual_add_f32 v68, v75, v68
	v_fmac_f32_e32 v169, 0x3f6eb680, v202
	s_delay_alu instid0(VALU_DEP_2) | instskip(NEXT) | instid1(VALU_DEP_3)
	v_add_f32_e32 v70, v165, v70
	v_add_f32_e32 v68, v157, v68
	s_delay_alu instid0(VALU_DEP_2) | instskip(NEXT) | instid1(VALU_DEP_2)
	v_add_f32_e32 v70, v167, v70
	v_add_f32_e32 v68, v183, v68
	s_delay_alu instid0(VALU_DEP_2) | instskip(NEXT) | instid1(VALU_DEP_2)
	v_add_f32_e32 v70, v169, v70
	v_add_f32_e32 v68, v201, v68
	s_delay_alu instid0(VALU_DEP_2) | instskip(NEXT) | instid1(VALU_DEP_1)
	v_add_f32_e32 v70, v171, v70
	v_add_f32_e32 v84, v210, v70
	v_fma_f32 v70, 0x3ee437d1, v160, -v161
	s_delay_alu instid0(VALU_DEP_1) | instskip(SKIP_3) | instid1(VALU_DEP_1)
	v_add_f32_e32 v69, v70, v69
	v_fma_f32 v70, 0xbe8c1d8e, v187, -v188
	ds_store_2addr_b64 v90, v[84:85], v[82:83] offset0:130 offset1:249
	v_add_f32_e32 v69, v71, v69
	v_add_f32_e32 v69, v70, v69
	v_fma_f32 v70, 0xbf1a4643, v203, -v204
	s_delay_alu instid0(VALU_DEP_1) | instskip(SKIP_1) | instid1(VALU_DEP_1)
	v_add_f32_e32 v69, v70, v69
	v_fma_f32 v70, 0xbf59a7d5, v217, -v218
	v_dual_add_f32 v68, v216, v68 :: v_dual_add_f32 v69, v70, v69
	v_fma_f32 v70, 0xbf7ba420, v225, -v226
	s_delay_alu instid0(VALU_DEP_1)
	v_dual_add_f32 v68, v223, v68 :: v_dual_add_f32 v69, v70, v69
	ds_store_b64 v145, v[68:69] offset:15232
	global_wb scope:SCOPE_SE
	s_wait_storecnt_dscnt 0x0
	s_barrier_signal -1
	s_barrier_wait -1
	global_inv scope:SCOPE_SE
	s_clause 0x3
	global_load_b64 v[72:73], v[72:73], off offset:16184
	global_load_b64 v[77:78], v145, s[2:3] offset:952
	global_load_b64 v[82:83], v145, s[2:3] offset:2856
	;; [unrolled: 1-line block ×3, first 2 shown]
	ds_load_2addr_b64 v[68:71], v145 offset1:119
	s_wait_loadcnt_dscnt 0x300
	v_mul_f32_e32 v75, v69, v73
	v_mul_f32_e32 v87, v68, v73
	s_delay_alu instid0(VALU_DEP_2) | instskip(SKIP_1) | instid1(VALU_DEP_2)
	v_fma_f32 v86, v68, v72, -v75
	s_wait_loadcnt 0x2
	v_dual_fmac_f32 v87, v69, v72 :: v_dual_mul_f32 v68, v71, v78
	v_mul_f32_e32 v69, v70, v78
	s_delay_alu instid0(VALU_DEP_2) | instskip(NEXT) | instid1(VALU_DEP_2)
	v_fma_f32 v68, v70, v77, -v68
	v_fmac_f32_e32 v69, v71, v77
	ds_store_2addr_b64 v145, v[86:87], v[68:69] offset1:119
	s_clause 0x2
	global_load_b64 v[72:73], v145, s[2:3] offset:1904
	global_load_b64 v[77:78], v145, s[2:3] offset:3808
	;; [unrolled: 1-line block ×3, first 2 shown]
	ds_load_b64 v[91:92], v145 offset:15232
	ds_load_2addr_b64 v[68:71], v74 offset0:110 offset1:229
	s_wait_loadcnt_dscnt 0x200
	v_mul_f32_e32 v75, v69, v73
	v_dual_mul_f32 v94, v68, v73 :: v_dual_mul_f32 v73, v70, v83
	s_delay_alu instid0(VALU_DEP_2) | instskip(SKIP_1) | instid1(VALU_DEP_3)
	v_fma_f32 v93, v68, v72, -v75
	v_mul_f32_e32 v68, v71, v83
	v_dual_fmac_f32 v94, v69, v72 :: v_dual_fmac_f32 v73, v71, v82
	s_delay_alu instid0(VALU_DEP_2) | instskip(SKIP_4) | instid1(VALU_DEP_2)
	v_fma_f32 v72, v70, v82, -v68
	ds_load_2addr_b64 v[68:71], v76 offset0:92 offset1:211
	s_wait_loadcnt_dscnt 0x100
	v_mul_f32_e32 v75, v69, v78
	v_dual_mul_f32 v83, v68, v78 :: v_dual_mul_f32 v78, v70, v85
	v_fma_f32 v82, v68, v77, -v75
	v_mul_f32_e32 v68, v71, v85
	s_delay_alu instid0(VALU_DEP_3) | instskip(NEXT) | instid1(VALU_DEP_2)
	v_dual_fmac_f32 v83, v69, v77 :: v_dual_fmac_f32 v78, v71, v84
	v_fma_f32 v77, v70, v84, -v68
	ds_load_2addr_b64 v[68:71], v80 offset0:74 offset1:193
	s_wait_loadcnt_dscnt 0x0
	v_mul_f32_e32 v75, v69, v87
	v_mul_f32_e32 v85, v68, v87
	s_delay_alu instid0(VALU_DEP_2) | instskip(NEXT) | instid1(VALU_DEP_2)
	v_fma_f32 v84, v68, v86, -v75
	v_fmac_f32_e32 v85, v69, v86
	s_clause 0x3
	global_load_b64 v[68:69], v145, s[2:3] offset:6664
	global_load_b64 v[86:87], v145, s[2:3] offset:7616
	;; [unrolled: 1-line block ×4, first 2 shown]
	s_wait_loadcnt 0x3
	v_mul_f32_e32 v75, v71, v69
	v_mul_f32_e32 v144, v70, v69
	s_delay_alu instid0(VALU_DEP_2) | instskip(NEXT) | instid1(VALU_DEP_2)
	v_fma_f32 v143, v70, v68, -v75
	v_fmac_f32_e32 v144, v71, v68
	ds_load_2addr_b64 v[68:71], v89 offset0:56 offset1:175
	s_wait_loadcnt_dscnt 0x200
	v_mul_f32_e32 v75, v69, v87
	v_mul_f32_e32 v153, v68, v87
	s_wait_loadcnt 0x1
	v_mul_f32_e32 v87, v70, v140
	s_delay_alu instid0(VALU_DEP_3) | instskip(NEXT) | instid1(VALU_DEP_3)
	v_fma_f32 v152, v68, v86, -v75
	v_dual_mul_f32 v68, v71, v140 :: v_dual_fmac_f32 v153, v69, v86
	s_delay_alu instid0(VALU_DEP_3) | instskip(NEXT) | instid1(VALU_DEP_2)
	v_fmac_f32_e32 v87, v71, v139
	v_fma_f32 v86, v70, v139, -v68
	ds_load_2addr_b64 v[68:71], v81 offset0:38 offset1:157
	s_wait_loadcnt_dscnt 0x0
	v_mul_f32_e32 v75, v69, v142
	v_mul_f32_e32 v140, v68, v142
	s_delay_alu instid0(VALU_DEP_2) | instskip(NEXT) | instid1(VALU_DEP_2)
	v_fma_f32 v139, v68, v141, -v75
	v_fmac_f32_e32 v140, v69, v141
	s_clause 0x3
	global_load_b64 v[68:69], v145, s[2:3] offset:10472
	global_load_b64 v[141:142], v145, s[2:3] offset:11424
	;; [unrolled: 1-line block ×4, first 2 shown]
	s_wait_loadcnt 0x3
	v_mul_f32_e32 v75, v71, v69
	v_mul_f32_e32 v159, v70, v69
	s_delay_alu instid0(VALU_DEP_2) | instskip(NEXT) | instid1(VALU_DEP_2)
	v_fma_f32 v158, v70, v68, -v75
	v_fmac_f32_e32 v159, v71, v68
	ds_load_2addr_b64 v[68:71], v253 offset0:20 offset1:139
	s_wait_loadcnt_dscnt 0x200
	v_mul_f32_e32 v75, v69, v142
	s_wait_loadcnt 0x1
	v_dual_mul_f32 v161, v68, v142 :: v_dual_mul_f32 v142, v70, v155
	s_delay_alu instid0(VALU_DEP_2) | instskip(NEXT) | instid1(VALU_DEP_2)
	v_fma_f32 v160, v68, v141, -v75
	v_dual_mul_f32 v68, v71, v155 :: v_dual_fmac_f32 v161, v69, v141
	s_delay_alu instid0(VALU_DEP_3) | instskip(NEXT) | instid1(VALU_DEP_2)
	v_fmac_f32_e32 v142, v71, v154
	v_fma_f32 v141, v70, v154, -v68
	ds_load_2addr_b64 v[68:71], v90 offset0:130 offset1:249
	s_wait_loadcnt_dscnt 0x0
	v_mul_f32_e32 v75, v69, v157
	v_mul_f32_e32 v155, v68, v157
	s_delay_alu instid0(VALU_DEP_2) | instskip(NEXT) | instid1(VALU_DEP_2)
	v_fma_f32 v154, v68, v156, -v75
	v_fmac_f32_e32 v155, v69, v156
	s_clause 0x1
	global_load_b64 v[68:69], v145, s[2:3] offset:14280
	global_load_b64 v[156:157], v145, s[2:3] offset:15232
	ds_store_2addr_b64 v74, v[93:94], v[72:73] offset0:110 offset1:229
	ds_store_2addr_b64 v76, v[82:83], v[77:78] offset0:92 offset1:211
	;; [unrolled: 1-line block ×3, first 2 shown]
	s_wait_loadcnt 0x1
	v_mul_f32_e32 v75, v71, v69
	v_mul_f32_e32 v163, v70, v69
	s_wait_loadcnt 0x0
	v_mul_f32_e32 v69, v91, v157
	s_delay_alu instid0(VALU_DEP_3) | instskip(NEXT) | instid1(VALU_DEP_3)
	v_fma_f32 v162, v70, v68, -v75
	v_dual_fmac_f32 v163, v71, v68 :: v_dual_mul_f32 v68, v92, v157
	s_delay_alu instid0(VALU_DEP_3) | instskip(NEXT) | instid1(VALU_DEP_2)
	v_fmac_f32_e32 v69, v92, v156
	v_fma_f32 v68, v91, v156, -v68
	ds_store_2addr_b64 v89, v[152:153], v[86:87] offset0:56 offset1:175
	ds_store_2addr_b64 v81, v[139:140], v[158:159] offset0:38 offset1:157
	;; [unrolled: 1-line block ×4, first 2 shown]
	ds_store_b64 v145, v[68:69] offset:15232
	global_wb scope:SCOPE_SE
	s_wait_dscnt 0x0
	s_barrier_signal -1
	s_barrier_wait -1
	global_inv scope:SCOPE_SE
	ds_load_2addr_b64 v[68:71], v145 offset1:119
	ds_load_2addr_b64 v[72:75], v74 offset0:110 offset1:229
	ds_load_2addr_b64 v[152:155], v253 offset0:20 offset1:139
	;; [unrolled: 1-line block ×5, first 2 shown]
	s_wait_dscnt 0x5
	v_dual_add_f32 v77, v68, v70 :: v_dual_add_f32 v78, v69, v71
	s_wait_dscnt 0x4
	s_delay_alu instid0(VALU_DEP_1) | instskip(SKIP_3) | instid1(VALU_DEP_3)
	v_dual_add_f32 v77, v77, v72 :: v_dual_add_f32 v78, v78, v73
	s_wait_dscnt 0x0
	v_dual_sub_f32 v160, v73, v168 :: v_dual_sub_f32 v157, v75, v166
	v_add_f32_e32 v156, v168, v73
	v_dual_add_f32 v82, v77, v74 :: v_dual_add_f32 v83, v78, v75
	ds_load_2addr_b64 v[76:79], v76 offset0:92 offset1:211
	v_mul_f32_e32 v193, 0xbf1a4643, v156
	v_mul_f32_e32 v213, 0xbf59a7d5, v156
	s_wait_dscnt 0x0
	v_dual_add_f32 v82, v82, v76 :: v_dual_add_f32 v83, v83, v77
	v_dual_sub_f32 v143, v77, v155 :: v_dual_add_f32 v142, v155, v77
	v_add_f32_e32 v77, v152, v78
	s_delay_alu instid0(VALU_DEP_3) | instskip(SKIP_1) | instid1(VALU_DEP_2)
	v_dual_add_f32 v82, v82, v78 :: v_dual_add_f32 v83, v83, v79
	v_dual_sub_f32 v78, v78, v152 :: v_dual_sub_f32 v141, v79, v153
	v_dual_mul_f32 v197, 0xbe8c1d8e, v142 :: v_dual_add_f32 v80, v82, v84
	s_delay_alu instid0(VALU_DEP_3) | instskip(NEXT) | instid1(VALU_DEP_1)
	v_dual_add_f32 v82, v83, v85 :: v_dual_mul_f32 v205, 0x3f6eb680, v142
	v_dual_add_f32 v92, v80, v86 :: v_dual_add_f32 v93, v82, v87
	ds_load_2addr_b64 v[80:83], v81 offset0:38 offset1:157
	v_add_f32_e32 v89, v93, v162
	v_add_f32_e32 v93, v153, v79
	s_delay_alu instid0(VALU_DEP_2)
	v_add_f32_e32 v89, v89, v164
	s_wait_dscnt 0x0
	v_dual_sub_f32 v139, v87, v81 :: v_dual_add_f32 v140, v81, v87
	v_dual_add_f32 v87, v92, v161 :: v_dual_sub_f32 v94, v85, v83
	v_add_f32_e32 v95, v83, v85
	v_dual_add_f32 v85, v80, v86 :: v_dual_sub_f32 v86, v86, v80
	s_delay_alu instid0(VALU_DEP_3) | instskip(SKIP_3) | instid1(VALU_DEP_4)
	v_add_f32_e32 v87, v87, v163
	v_dual_add_f32 v91, v82, v84 :: v_dual_sub_f32 v84, v84, v82
	v_add_f32_e32 v81, v89, v81
	v_mul_f32_e32 v191, 0x3ee437d1, v140
	v_add_f32_e32 v80, v87, v80
	v_mul_f32_e32 v200, 0xbeb8f4ab, v94
	v_mul_f32_e32 v203, 0x3dbcf732, v140
	v_dual_add_f32 v81, v81, v83 :: v_dual_mul_f32 v208, 0xbf06c442, v94
	s_delay_alu instid0(VALU_DEP_4) | instskip(SKIP_1) | instid1(VALU_DEP_3)
	v_add_f32_e32 v82, v80, v82
	v_add_f32_e32 v80, v154, v76
	v_dual_sub_f32 v76, v76, v154 :: v_dual_add_f32 v81, v81, v153
	v_mul_f32_e32 v211, 0xbf1a4643, v140
	s_delay_alu instid0(VALU_DEP_4) | instskip(SKIP_3) | instid1(VALU_DEP_4)
	v_add_f32_e32 v79, v82, v152
	v_mul_f32_e32 v217, 0x3ee437d1, v142
	v_mul_f32_e32 v223, 0x3f6eb680, v140
	v_dual_add_f32 v81, v81, v155 :: v_dual_mul_f32 v220, 0x3f7ee86f, v94
	v_add_f32_e32 v82, v79, v154
	ds_load_b64 v[153:154], v145 offset:15232
	global_wb scope:SCOPE_SE
	s_wait_dscnt 0x0
	v_add_f32_e32 v81, v81, v166
	s_barrier_signal -1
	s_barrier_wait -1
	global_inv scope:SCOPE_SE
	v_add_f32_e32 v97, v81, v168
	v_dual_add_f32 v81, v153, v70 :: v_dual_sub_f32 v70, v70, v153
	v_add_f32_e32 v155, v166, v75
	v_add_f32_e32 v75, v82, v165
	s_delay_alu instid0(VALU_DEP_1) | instskip(SKIP_2) | instid1(VALU_DEP_1)
	v_add_f32_e32 v96, v75, v167
	v_sub_f32_e32 v75, v71, v154
	v_add_f32_e32 v71, v154, v71
	v_dual_add_f32 v73, v167, v72 :: v_dual_mul_f32 v152, 0xbf1a4643, v71
	v_mul_f32_e32 v148, 0x3dbcf732, v71
	v_dual_sub_f32 v79, v72, v167 :: v_dual_add_f32 v72, v165, v74
	v_sub_f32_e32 v74, v74, v165
	s_delay_alu instid0(VALU_DEP_4)
	v_fmamk_f32 v165, v70, 0x3f4c4adb, v152
	v_fmac_f32_e32 v152, 0xbf4c4adb, v70
	v_mul_f32_e32 v158, 0xbf59a7d5, v71
	v_mul_f32_e32 v108, 0x3f3d2fb0, v71
	;; [unrolled: 1-line block ×3, first 2 shown]
	v_dual_mul_f32 v150, 0xbe8c1d8e, v71 :: v_dual_add_f32 v181, v96, v153
	s_delay_alu instid0(VALU_DEP_4)
	v_fmamk_f32 v166, v70, 0x3f06c442, v158
	v_mul_f32_e32 v82, 0xbeb8f4ab, v75
	v_mul_f32_e32 v102, 0xbf4c4adb, v75
	;; [unrolled: 1-line block ×5, first 2 shown]
	v_fmamk_f32 v83, v81, 0x3f6eb680, v82
	v_dual_mul_f32 v103, 0xbf06c442, v75 :: v_dual_fmac_f32 v158, 0xbf06c442, v70
	v_fmamk_f32 v144, v70, 0x3f2c7751, v108
	v_dual_mul_f32 v87, 0xbf2c7751, v75 :: v_dual_fmac_f32 v108, 0xbf2c7751, v70
	v_mul_f32_e32 v75, 0xbe3c28d5, v75
	v_add_f32_e32 v168, v68, v83
	v_fmamk_f32 v104, v81, 0xbf1a4643, v102
	v_fmamk_f32 v101, v81, 0xbe8c1d8e, v100
	v_fma_f32 v82, 0x3f6eb680, v81, -v82
	v_fmamk_f32 v106, v81, 0xbf7ba420, v75
	v_fma_f32 v107, 0xbf7ba420, v81, -v75
	v_dual_add_f32 v180, v68, v104 :: v_dual_fmamk_f32 v105, v81, 0xbf59a7d5, v103
	v_fma_f32 v103, 0xbf59a7d5, v81, -v103
	v_fmamk_f32 v149, v70, 0x3f7ee86f, v148
	v_mul_f32_e32 v75, 0x3f6eb680, v71
	v_fmamk_f32 v92, v81, 0x3ee437d1, v90
	v_fma_f32 v90, 0x3ee437d1, v81, -v90
	v_fmamk_f32 v99, v81, 0x3dbcf732, v98
	v_fma_f32 v98, 0x3dbcf732, v81, -v98
	v_fma_f32 v100, 0xbe8c1d8e, v81, -v100
	;; [unrolled: 1-line block ×3, first 2 shown]
	v_fmamk_f32 v147, v70, 0x3f65296c, v146
	v_fmac_f32_e32 v146, 0xbf65296c, v70
	v_fmac_f32_e32 v148, 0xbf7ee86f, v70
	v_dual_mul_f32 v159, 0xbf7ba420, v71 :: v_dual_add_f32 v176, v68, v106
	v_add_f32_e32 v186, v69, v144
	v_fmamk_f32 v89, v81, 0x3f3d2fb0, v87
	v_fma_f32 v87, 0x3f3d2fb0, v81, -v87
	v_fmamk_f32 v81, v70, 0x3eb8f4ab, v75
	v_dual_fmac_f32 v75, 0xbeb8f4ab, v70 :: v_dual_add_f32 v170, v69, v152
	v_mul_f32_e32 v153, 0xbf2c7751, v160
	v_dual_fmamk_f32 v151, v70, 0x3f763a35, v150 :: v_dual_add_f32 v144, v69, v158
	v_fmac_f32_e32 v150, 0xbf763a35, v70
	v_dual_fmamk_f32 v167, v70, 0x3e3c28d5, v159 :: v_dual_add_f32 v182, v97, v154
	v_dual_fmac_f32 v159, 0xbe3c28d5, v70 :: v_dual_sub_f32 v96, v162, v164
	v_dual_add_f32 v70, v68, v82 :: v_dual_add_f32 v71, v69, v75
	v_dual_add_f32 v83, v68, v87 :: v_dual_mul_f32 v154, 0x3f3d2fb0, v156
	v_add_f32_e32 v82, v69, v108
	v_add_f32_e32 v108, v68, v92
	v_add_f32_e32 v185, v68, v89
	v_dual_add_f32 v75, v69, v146 :: v_dual_mul_f32 v158, 0xbf65296c, v157
	v_dual_add_f32 v89, v68, v100 :: v_dual_fmamk_f32 v100, v73, 0x3f3d2fb0, v153
	v_dual_add_f32 v169, v69, v81 :: v_dual_add_f32 v92, v68, v98
	v_add_f32_e32 v98, v68, v101
	v_add_f32_e32 v171, v68, v102
	v_dual_add_f32 v178, v68, v105 :: v_dual_add_f32 v147, v69, v147
	v_fmamk_f32 v102, v79, 0x3f2c7751, v154
	v_add_f32_e32 v152, v68, v103
	v_dual_add_f32 v173, v69, v159 :: v_dual_add_f32 v100, v100, v168
	v_fmamk_f32 v103, v72, 0x3ee437d1, v158
	v_mul_f32_e32 v159, 0x3ee437d1, v155
	v_dual_add_f32 v81, v68, v90 :: v_dual_add_f32 v102, v102, v169
	s_delay_alu instid0(VALU_DEP_3) | instskip(NEXT) | instid1(VALU_DEP_3)
	v_dual_add_f32 v99, v68, v99 :: v_dual_add_f32 v100, v103, v100
	v_dual_fmamk_f32 v103, v74, 0x3f65296c, v159 :: v_dual_add_f32 v146, v69, v149
	v_add_f32_e32 v90, v69, v148
	v_add_f32_e32 v101, v69, v151
	;; [unrolled: 1-line block ×7, first 2 shown]
	v_dual_add_f32 v102, v103, v102 :: v_dual_add_f32 v179, v69, v165
	v_sub_f32_e32 v69, v161, v163
	v_mul_f32_e32 v161, 0xbf7ee86f, v143
	v_add_f32_e32 v97, v164, v162
	v_mul_f32_e32 v162, 0x3dbcf732, v142
	v_mul_f32_e32 v105, 0xbf4c4adb, v157
	;; [unrolled: 1-line block ×3, first 2 shown]
	v_fmamk_f32 v103, v80, 0x3dbcf732, v161
	v_mul_f32_e32 v164, 0xbe8c1d8e, v93
	v_mul_f32_e32 v165, 0xbf4c4adb, v94
	v_fmamk_f32 v106, v72, 0xbf1a4643, v105
	v_mul_f32_e32 v166, 0xbf1a4643, v95
	v_dual_add_f32 v100, v103, v100 :: v_dual_fmamk_f32 v103, v76, 0x3f7ee86f, v162
	v_mul_f32_e32 v167, 0xbf06c442, v139
	v_mul_f32_e32 v168, 0xbf59a7d5, v140
	v_mul_f32_e32 v169, 0xbe3c28d5, v96
	v_mul_f32_e32 v194, 0x3e3c28d5, v157
	v_dual_add_f32 v102, v103, v102 :: v_dual_fmamk_f32 v103, v77, 0xbe8c1d8e, v163
	v_mul_f32_e32 v189, 0xbe8c1d8e, v95
	v_mul_f32_e32 v196, 0x3f763a35, v143
	v_mul_f32_e32 v190, 0x3f65296c, v139
	;; [unrolled: 5-line block ×3, first 2 shown]
	s_delay_alu instid0(VALU_DEP_4)
	v_dual_mul_f32 v201, 0x3f6eb680, v95 :: v_dual_add_f32 v102, v103, v102
	v_fmamk_f32 v103, v91, 0xbf1a4643, v165
	v_mul_f32_e32 v202, 0xbf7ee86f, v139
	v_mul_f32_e32 v204, 0xbf06c442, v96
	;; [unrolled: 1-line block ×4, first 2 shown]
	v_dual_add_f32 v100, v103, v100 :: v_dual_fmamk_f32 v103, v84, 0x3f4c4adb, v166
	v_mul_f32_e32 v206, 0xbf65296c, v141
	v_mul_f32_e32 v207, 0x3ee437d1, v93
	;; [unrolled: 1-line block ×4, first 2 shown]
	v_dual_add_f32 v102, v103, v102 :: v_dual_fmamk_f32 v103, v85, 0xbf59a7d5, v167
	v_mul_f32_e32 v212, 0x3f2c7751, v96
	v_mul_f32_e32 v224, 0xbf4c4adb, v96
	;; [unrolled: 1-line block ×3, first 2 shown]
	s_delay_alu instid0(VALU_DEP_4) | instskip(SKIP_4) | instid1(VALU_DEP_4)
	v_dual_mul_f32 v215, 0x3f3d2fb0, v155 :: v_dual_add_f32 v100, v103, v100
	v_fmamk_f32 v103, v86, 0x3f06c442, v168
	v_mul_f32_e32 v172, 0xbf7ba420, v97
	v_mul_f32_e32 v238, 0x3ee437d1, v97
	;; [unrolled: 1-line block ×3, first 2 shown]
	v_dual_mul_f32 v219, 0xbf7ba420, v93 :: v_dual_add_f32 v102, v103, v102
	v_fmamk_f32 v103, v68, 0xbf7ba420, v169
	v_mul_f32_e32 v221, 0x3dbcf732, v95
	v_mul_f32_e32 v252, 0xbe8c1d8e, v97
	;; [unrolled: 1-line block ×3, first 2 shown]
	v_fmac_f32_e32 v166, 0xbf4c4adb, v84
	v_dual_add_f32 v183, v103, v100 :: v_dual_fmamk_f32 v100, v69, 0x3e3c28d5, v172
	v_mul_f32_e32 v103, 0x3dbcf732, v156
	v_fmac_f32_e32 v172, 0xbe3c28d5, v69
	v_fmac_f32_e32 v162, 0xbf7ee86f, v76
	;; [unrolled: 1-line block ×3, first 2 shown]
	v_add_f32_e32 v184, v100, v102
	v_mul_f32_e32 v100, 0xbf7ee86f, v160
	v_fmamk_f32 v104, v79, 0x3f7ee86f, v103
	v_fmac_f32_e32 v159, 0xbf65296c, v74
	v_dual_fmac_f32 v164, 0xbf763a35, v78 :: v_dual_add_f32 v71, v154, v71
	s_delay_alu instid0(VALU_DEP_4) | instskip(NEXT) | instid1(VALU_DEP_4)
	v_fmamk_f32 v102, v73, 0x3dbcf732, v100
	v_add_f32_e32 v104, v104, v186
	s_delay_alu instid0(VALU_DEP_3) | instskip(NEXT) | instid1(VALU_DEP_3)
	v_dual_fmac_f32 v168, 0xbf06c442, v86 :: v_dual_add_f32 v71, v159, v71
	v_add_f32_e32 v102, v102, v185
	s_delay_alu instid0(VALU_DEP_2) | instskip(NEXT) | instid1(VALU_DEP_2)
	v_add_f32_e32 v71, v162, v71
	v_add_f32_e32 v102, v106, v102
	v_mul_f32_e32 v106, 0xbf1a4643, v155
	s_delay_alu instid0(VALU_DEP_3) | instskip(NEXT) | instid1(VALU_DEP_2)
	v_add_f32_e32 v71, v164, v71
	v_fmamk_f32 v107, v74, 0x3f4c4adb, v106
	s_delay_alu instid0(VALU_DEP_2) | instskip(NEXT) | instid1(VALU_DEP_2)
	v_dual_fmac_f32 v106, 0xbf4c4adb, v74 :: v_dual_add_f32 v71, v166, v71
	v_dual_add_f32 v104, v107, v104 :: v_dual_mul_f32 v107, 0xbe3c28d5, v143
	s_delay_alu instid0(VALU_DEP_2) | instskip(NEXT) | instid1(VALU_DEP_2)
	v_add_f32_e32 v71, v168, v71
	v_fmamk_f32 v148, v80, 0xbf7ba420, v107
	s_delay_alu instid0(VALU_DEP_1) | instskip(SKIP_1) | instid1(VALU_DEP_1)
	v_add_f32_e32 v102, v148, v102
	v_mul_f32_e32 v148, 0xbf7ba420, v142
	v_fmamk_f32 v149, v76, 0x3e3c28d5, v148
	s_delay_alu instid0(VALU_DEP_1) | instskip(NEXT) | instid1(VALU_DEP_1)
	v_dual_add_f32 v104, v149, v104 :: v_dual_mul_f32 v149, 0x3f06c442, v141
	v_fmamk_f32 v150, v77, 0xbf59a7d5, v149
	s_delay_alu instid0(VALU_DEP_1) | instskip(SKIP_1) | instid1(VALU_DEP_1)
	v_add_f32_e32 v102, v150, v102
	v_mul_f32_e32 v150, 0xbf59a7d5, v93
	v_fmamk_f32 v151, v78, 0xbf06c442, v150
	s_delay_alu instid0(VALU_DEP_1) | instskip(NEXT) | instid1(VALU_DEP_1)
	v_dual_add_f32 v104, v151, v104 :: v_dual_mul_f32 v151, 0x3f763a35, v94
	v_fmamk_f32 v185, v91, 0xbe8c1d8e, v151
	s_delay_alu instid0(VALU_DEP_1) | instskip(NEXT) | instid1(VALU_DEP_1)
	v_dual_add_f32 v102, v185, v102 :: v_dual_fmamk_f32 v185, v84, 0xbf763a35, v189
	v_add_f32_e32 v104, v185, v104
	v_fmamk_f32 v185, v85, 0x3ee437d1, v190
	s_delay_alu instid0(VALU_DEP_1) | instskip(NEXT) | instid1(VALU_DEP_1)
	v_dual_add_f32 v102, v185, v102 :: v_dual_fmamk_f32 v185, v86, 0xbf65296c, v191
	v_dual_add_f32 v104, v185, v104 :: v_dual_fmamk_f32 v185, v68, 0x3f6eb680, v192
	s_delay_alu instid0(VALU_DEP_1) | instskip(NEXT) | instid1(VALU_DEP_1)
	v_dual_add_f32 v185, v185, v102 :: v_dual_mul_f32 v102, 0x3f6eb680, v97
	v_fmamk_f32 v186, v69, 0xbeb8f4ab, v102
	v_fmac_f32_e32 v102, 0x3eb8f4ab, v69
	s_delay_alu instid0(VALU_DEP_2) | instskip(SKIP_1) | instid1(VALU_DEP_1)
	v_add_f32_e32 v186, v186, v104
	v_mul_f32_e32 v104, 0xbf4c4adb, v160
	v_fmamk_f32 v187, v73, 0xbf1a4643, v104
	s_delay_alu instid0(VALU_DEP_1) | instskip(SKIP_1) | instid1(VALU_DEP_1)
	v_add_f32_e32 v108, v187, v108
	v_fmamk_f32 v187, v79, 0x3f4c4adb, v193
	v_add_f32_e32 v147, v187, v147
	v_fmamk_f32 v187, v72, 0xbf7ba420, v194
	v_fmac_f32_e32 v148, 0xbe3c28d5, v76
	s_delay_alu instid0(VALU_DEP_2) | instskip(NEXT) | instid1(VALU_DEP_1)
	v_dual_add_f32 v108, v187, v108 :: v_dual_fmamk_f32 v187, v74, 0xbe3c28d5, v195
	v_add_f32_e32 v147, v187, v147
	v_fmamk_f32 v187, v80, 0xbe8c1d8e, v196
	s_delay_alu instid0(VALU_DEP_1) | instskip(NEXT) | instid1(VALU_DEP_1)
	v_dual_add_f32 v108, v187, v108 :: v_dual_fmamk_f32 v187, v76, 0xbf763a35, v197
	v_add_f32_e32 v147, v187, v147
	v_fmamk_f32 v187, v77, 0x3f3d2fb0, v198
	v_fmac_f32_e32 v150, 0x3f06c442, v78
	s_delay_alu instid0(VALU_DEP_2) | instskip(NEXT) | instid1(VALU_DEP_1)
	v_dual_add_f32 v108, v187, v108 :: v_dual_fmamk_f32 v187, v78, 0xbf2c7751, v199
	v_add_f32_e32 v147, v187, v147
	v_fmamk_f32 v187, v91, 0x3f6eb680, v200
	s_delay_alu instid0(VALU_DEP_1) | instskip(SKIP_1) | instid1(VALU_DEP_2)
	v_dual_add_f32 v108, v187, v108 :: v_dual_fmamk_f32 v187, v84, 0x3eb8f4ab, v201
	v_fmac_f32_e32 v189, 0x3f763a35, v84
	v_add_f32_e32 v147, v187, v147
	v_fmamk_f32 v187, v85, 0x3dbcf732, v202
	s_delay_alu instid0(VALU_DEP_1) | instskip(NEXT) | instid1(VALU_DEP_1)
	v_dual_add_f32 v108, v187, v108 :: v_dual_fmamk_f32 v187, v86, 0x3f7ee86f, v203
	v_add_f32_e32 v147, v187, v147
	v_fmamk_f32 v187, v68, 0xbf59a7d5, v204
	s_delay_alu instid0(VALU_DEP_1) | instskip(NEXT) | instid1(VALU_DEP_1)
	v_dual_add_f32 v187, v187, v108 :: v_dual_mul_f32 v108, 0xbf59a7d5, v97
	v_fmamk_f32 v188, v69, 0x3f06c442, v108
	v_fmac_f32_e32 v108, 0xbf06c442, v69
	s_delay_alu instid0(VALU_DEP_2)
	v_dual_add_f32 v188, v188, v147 :: v_dual_mul_f32 v147, 0xbe3c28d5, v160
	ds_store_2addr_b64 v88, v[181:182], v[183:184] offset1:1
	ds_store_2addr_b64 v88, v[185:186], v[187:188] offset0:2 offset1:3
	v_mul_f32_e32 v185, 0xbf7ba420, v156
	v_fmamk_f32 v181, v73, 0xbf7ba420, v147
	v_mul_f32_e32 v186, 0x3f763a35, v157
	v_mul_f32_e32 v187, 0xbe8c1d8e, v155
	;; [unrolled: 1-line block ×3, first 2 shown]
	v_fmac_f32_e32 v103, 0xbf7ee86f, v79
	v_add_f32_e32 v99, v181, v99
	v_fmamk_f32 v181, v79, 0x3e3c28d5, v185
	s_delay_alu instid0(VALU_DEP_3) | instskip(NEXT) | instid1(VALU_DEP_2)
	v_add_f32_e32 v82, v103, v82
	v_dual_add_f32 v146, v181, v146 :: v_dual_fmamk_f32 v181, v72, 0xbe8c1d8e, v186
	s_delay_alu instid0(VALU_DEP_1) | instskip(NEXT) | instid1(VALU_DEP_1)
	v_dual_add_f32 v82, v106, v82 :: v_dual_add_f32 v99, v181, v99
	v_dual_fmamk_f32 v181, v74, 0xbf763a35, v187 :: v_dual_add_f32 v82, v148, v82
	s_delay_alu instid0(VALU_DEP_1) | instskip(NEXT) | instid1(VALU_DEP_2)
	v_dual_add_f32 v146, v181, v146 :: v_dual_fmamk_f32 v181, v80, 0x3f6eb680, v188
	v_add_f32_e32 v82, v150, v82
	v_fmac_f32_e32 v191, 0x3f65296c, v86
	s_delay_alu instid0(VALU_DEP_3) | instskip(NEXT) | instid1(VALU_DEP_3)
	v_add_f32_e32 v99, v181, v99
	v_dual_fmamk_f32 v181, v76, 0xbeb8f4ab, v205 :: v_dual_add_f32 v82, v189, v82
	s_delay_alu instid0(VALU_DEP_1) | instskip(NEXT) | instid1(VALU_DEP_2)
	v_add_f32_e32 v146, v181, v146
	v_dual_fmamk_f32 v181, v77, 0x3ee437d1, v206 :: v_dual_add_f32 v82, v191, v82
	s_delay_alu instid0(VALU_DEP_1) | instskip(SKIP_1) | instid1(VALU_DEP_1)
	v_add_f32_e32 v99, v181, v99
	v_fmamk_f32 v181, v78, 0x3f65296c, v207
	v_dual_add_f32 v146, v181, v146 :: v_dual_fmamk_f32 v181, v91, 0xbf59a7d5, v208
	v_fmac_f32_e32 v193, 0xbf4c4adb, v79
	s_delay_alu instid0(VALU_DEP_2) | instskip(SKIP_1) | instid1(VALU_DEP_3)
	v_add_f32_e32 v99, v181, v99
	v_fmamk_f32 v181, v84, 0x3f06c442, v209
	v_add_f32_e32 v75, v193, v75
	s_delay_alu instid0(VALU_DEP_2) | instskip(SKIP_1) | instid1(VALU_DEP_1)
	v_add_f32_e32 v146, v181, v146
	v_fmamk_f32 v181, v85, 0xbf1a4643, v210
	v_add_f32_e32 v99, v181, v99
	v_fmamk_f32 v181, v86, 0xbf4c4adb, v211
	s_delay_alu instid0(VALU_DEP_1) | instskip(SKIP_1) | instid1(VALU_DEP_2)
	v_dual_add_f32 v146, v181, v146 :: v_dual_fmamk_f32 v181, v68, 0x3f3d2fb0, v212
	v_fmac_f32_e32 v195, 0x3e3c28d5, v74
	v_add_f32_e32 v181, v181, v99
	v_mul_f32_e32 v99, 0x3f3d2fb0, v97
	s_delay_alu instid0(VALU_DEP_1) | instskip(NEXT) | instid1(VALU_DEP_1)
	v_dual_add_f32 v75, v195, v75 :: v_dual_fmamk_f32 v182, v69, 0xbf2c7751, v99
	v_add_f32_e32 v182, v182, v146
	v_mul_f32_e32 v146, 0x3f06c442, v160
	s_delay_alu instid0(VALU_DEP_1) | instskip(NEXT) | instid1(VALU_DEP_1)
	v_fmamk_f32 v183, v73, 0xbf59a7d5, v146
	v_add_f32_e32 v98, v183, v98
	v_fmamk_f32 v183, v79, 0xbf06c442, v213
	s_delay_alu instid0(VALU_DEP_1) | instskip(SKIP_1) | instid1(VALU_DEP_1)
	v_add_f32_e32 v101, v183, v101
	v_fmamk_f32 v183, v72, 0x3f3d2fb0, v214
	v_dual_add_f32 v98, v183, v98 :: v_dual_fmamk_f32 v183, v74, 0xbf2c7751, v215
	s_delay_alu instid0(VALU_DEP_1) | instskip(SKIP_1) | instid1(VALU_DEP_1)
	v_add_f32_e32 v101, v183, v101
	v_fmamk_f32 v183, v80, 0x3ee437d1, v216
	v_dual_add_f32 v98, v183, v98 :: v_dual_fmamk_f32 v183, v76, 0x3f65296c, v217
	;; [unrolled: 4-line block ×4, first 2 shown]
	v_fmac_f32_e32 v199, 0x3f2c7751, v78
	s_delay_alu instid0(VALU_DEP_2) | instskip(SKIP_1) | instid1(VALU_DEP_1)
	v_add_f32_e32 v101, v183, v101
	v_fmamk_f32 v183, v85, 0x3f6eb680, v222
	v_dual_add_f32 v98, v183, v98 :: v_dual_fmamk_f32 v183, v86, 0x3eb8f4ab, v223
	s_delay_alu instid0(VALU_DEP_1) | instskip(SKIP_1) | instid1(VALU_DEP_1)
	v_add_f32_e32 v101, v183, v101
	v_fmamk_f32 v183, v68, 0xbf1a4643, v224
	v_dual_add_f32 v183, v183, v98 :: v_dual_mul_f32 v98, 0xbf1a4643, v97
	v_mul_f32_e32 v97, 0x3dbcf732, v97
	s_delay_alu instid0(VALU_DEP_2) | instskip(SKIP_1) | instid1(VALU_DEP_2)
	v_fmamk_f32 v184, v69, 0x3f4c4adb, v98
	v_fmac_f32_e32 v98, 0xbf4c4adb, v69
	v_dual_add_f32 v184, v184, v101 :: v_dual_mul_f32 v101, 0x3f763a35, v160
	v_fmac_f32_e32 v197, 0x3f763a35, v76
	s_delay_alu instid0(VALU_DEP_2) | instskip(NEXT) | instid1(VALU_DEP_2)
	v_fmamk_f32 v225, v73, 0xbe8c1d8e, v101
	v_add_f32_e32 v75, v197, v75
	s_delay_alu instid0(VALU_DEP_2) | instskip(SKIP_1) | instid1(VALU_DEP_3)
	v_add_f32_e32 v180, v225, v180
	v_mul_f32_e32 v225, 0xbe8c1d8e, v156
	v_add_f32_e32 v75, v199, v75
	s_delay_alu instid0(VALU_DEP_2) | instskip(NEXT) | instid1(VALU_DEP_1)
	v_fmamk_f32 v226, v79, 0xbf763a35, v225
	v_dual_add_f32 v179, v226, v179 :: v_dual_mul_f32 v226, 0xbeb8f4ab, v157
	s_delay_alu instid0(VALU_DEP_1) | instskip(NEXT) | instid1(VALU_DEP_1)
	v_fmamk_f32 v227, v72, 0x3f6eb680, v226
	v_dual_add_f32 v180, v227, v180 :: v_dual_mul_f32 v227, 0x3f6eb680, v155
	v_fmac_f32_e32 v201, 0xbeb8f4ab, v84
	s_delay_alu instid0(VALU_DEP_2) | instskip(SKIP_1) | instid1(VALU_DEP_3)
	v_fmamk_f32 v228, v74, 0x3eb8f4ab, v227
	v_fmac_f32_e32 v227, 0xbeb8f4ab, v74
	v_add_f32_e32 v75, v201, v75
	s_delay_alu instid0(VALU_DEP_3) | instskip(SKIP_1) | instid1(VALU_DEP_1)
	v_add_f32_e32 v179, v228, v179
	v_mul_f32_e32 v228, 0xbf06c442, v143
	v_fmamk_f32 v229, v80, 0xbf59a7d5, v228
	s_delay_alu instid0(VALU_DEP_1) | instskip(NEXT) | instid1(VALU_DEP_1)
	v_dual_add_f32 v180, v229, v180 :: v_dual_mul_f32 v229, 0xbf59a7d5, v142
	v_fmamk_f32 v230, v76, 0x3f06c442, v229
	v_fmac_f32_e32 v229, 0xbf06c442, v76
	s_delay_alu instid0(VALU_DEP_2) | instskip(NEXT) | instid1(VALU_DEP_1)
	v_dual_add_f32 v179, v230, v179 :: v_dual_mul_f32 v230, 0x3f7ee86f, v141
	v_fmamk_f32 v231, v77, 0x3dbcf732, v230
	s_delay_alu instid0(VALU_DEP_1) | instskip(NEXT) | instid1(VALU_DEP_1)
	v_dual_add_f32 v180, v231, v180 :: v_dual_mul_f32 v231, 0x3dbcf732, v93
	v_fmamk_f32 v232, v78, 0xbf7ee86f, v231
	v_fmac_f32_e32 v231, 0x3f7ee86f, v78
	s_delay_alu instid0(VALU_DEP_2) | instskip(NEXT) | instid1(VALU_DEP_1)
	v_dual_add_f32 v179, v232, v179 :: v_dual_mul_f32 v232, 0xbf2c7751, v94
	v_fmamk_f32 v233, v91, 0x3f3d2fb0, v232
	s_delay_alu instid0(VALU_DEP_1) | instskip(NEXT) | instid1(VALU_DEP_1)
	v_dual_add_f32 v180, v233, v180 :: v_dual_mul_f32 v233, 0x3f3d2fb0, v95
	v_fmamk_f32 v234, v84, 0x3f2c7751, v233
	v_fmac_f32_e32 v233, 0xbf2c7751, v84
	s_delay_alu instid0(VALU_DEP_2) | instskip(SKIP_1) | instid1(VALU_DEP_1)
	v_add_f32_e32 v179, v234, v179
	v_mul_f32_e32 v234, 0xbe3c28d5, v139
	v_fmamk_f32 v235, v85, 0xbf7ba420, v234
	s_delay_alu instid0(VALU_DEP_1) | instskip(SKIP_1) | instid1(VALU_DEP_1)
	v_add_f32_e32 v180, v235, v180
	v_mul_f32_e32 v235, 0xbf7ba420, v140
	v_fmamk_f32 v236, v86, 0x3e3c28d5, v235
	s_delay_alu instid0(VALU_DEP_1) | instskip(SKIP_2) | instid1(VALU_DEP_2)
	v_add_f32_e32 v236, v236, v179
	v_fmamk_f32 v179, v68, 0x3ee437d1, v237
	v_fmac_f32_e32 v203, 0xbf7ee86f, v86
	v_dual_add_f32 v179, v179, v180 :: v_dual_fmamk_f32 v180, v69, 0xbf65296c, v238
	s_delay_alu instid0(VALU_DEP_2) | instskip(NEXT) | instid1(VALU_DEP_2)
	v_dual_add_f32 v75, v203, v75 :: v_dual_fmac_f32 v238, 0x3f65296c, v69
	v_add_f32_e32 v180, v180, v236
	v_mul_f32_e32 v236, 0x3f65296c, v160
	v_fmac_f32_e32 v187, 0x3f763a35, v74
	v_mul_f32_e32 v160, 0x3eb8f4ab, v160
	s_delay_alu instid0(VALU_DEP_3) | instskip(NEXT) | instid1(VALU_DEP_1)
	v_fmamk_f32 v239, v73, 0x3ee437d1, v236
	v_dual_add_f32 v178, v239, v178 :: v_dual_fmac_f32 v185, 0xbe3c28d5, v79
	s_delay_alu instid0(VALU_DEP_1) | instskip(SKIP_2) | instid1(VALU_DEP_3)
	v_dual_add_f32 v90, v185, v90 :: v_dual_mul_f32 v239, 0x3ee437d1, v156
	v_mul_f32_e32 v156, 0x3f6eb680, v156
	v_fmac_f32_e32 v235, 0xbe3c28d5, v86
	v_add_f32_e32 v90, v187, v90
	s_delay_alu instid0(VALU_DEP_4) | instskip(SKIP_1) | instid1(VALU_DEP_2)
	v_fmamk_f32 v240, v79, 0xbf65296c, v239
	v_fmac_f32_e32 v239, 0x3f65296c, v79
	v_add_f32_e32 v177, v240, v177
	v_mul_f32_e32 v240, 0xbf7ee86f, v157
	v_mul_f32_e32 v157, 0xbf06c442, v157
	s_delay_alu instid0(VALU_DEP_2) | instskip(NEXT) | instid1(VALU_DEP_1)
	v_fmamk_f32 v241, v72, 0x3dbcf732, v240
	v_dual_add_f32 v178, v241, v178 :: v_dual_mul_f32 v241, 0x3dbcf732, v155
	v_mul_f32_e32 v155, 0xbf59a7d5, v155
	s_delay_alu instid0(VALU_DEP_2) | instskip(SKIP_1) | instid1(VALU_DEP_2)
	v_fmamk_f32 v242, v74, 0x3f7ee86f, v241
	v_fmac_f32_e32 v241, 0xbf7ee86f, v74
	v_dual_add_f32 v177, v242, v177 :: v_dual_mul_f32 v242, 0x3f4c4adb, v143
	s_delay_alu instid0(VALU_DEP_1) | instskip(NEXT) | instid1(VALU_DEP_1)
	v_fmamk_f32 v243, v80, 0xbf1a4643, v242
	v_add_f32_e32 v178, v243, v178
	v_mul_f32_e32 v243, 0xbf1a4643, v142
	v_mul_f32_e32 v142, 0x3f3d2fb0, v142
	;; [unrolled: 1-line block ×3, first 2 shown]
	v_fmac_f32_e32 v215, 0x3f2c7751, v74
	s_delay_alu instid0(VALU_DEP_4) | instskip(SKIP_1) | instid1(VALU_DEP_2)
	v_fmamk_f32 v244, v76, 0xbf4c4adb, v243
	v_fmac_f32_e32 v243, 0x3f4c4adb, v76
	v_add_f32_e32 v177, v244, v177
	v_mul_f32_e32 v244, 0xbeb8f4ab, v141
	v_mul_f32_e32 v141, 0xbf4c4adb, v141
	s_delay_alu instid0(VALU_DEP_2) | instskip(NEXT) | instid1(VALU_DEP_1)
	v_fmamk_f32 v245, v77, 0x3f6eb680, v244
	v_dual_add_f32 v178, v245, v178 :: v_dual_mul_f32 v245, 0x3f6eb680, v93
	v_fmac_f32_e32 v207, 0xbf65296c, v78
	s_delay_alu instid0(VALU_DEP_2) | instskip(SKIP_1) | instid1(VALU_DEP_2)
	v_fmamk_f32 v246, v78, 0x3eb8f4ab, v245
	v_fmac_f32_e32 v245, 0xbeb8f4ab, v78
	v_dual_add_f32 v177, v246, v177 :: v_dual_mul_f32 v246, 0xbe3c28d5, v94
	s_delay_alu instid0(VALU_DEP_1) | instskip(NEXT) | instid1(VALU_DEP_1)
	v_fmamk_f32 v247, v91, 0xbf7ba420, v246
	v_dual_add_f32 v178, v247, v178 :: v_dual_mul_f32 v247, 0xbf7ba420, v95
	v_fmac_f32_e32 v209, 0xbf06c442, v84
	v_mul_f32_e32 v95, 0x3ee437d1, v95
	s_delay_alu instid0(VALU_DEP_3) | instskip(SKIP_1) | instid1(VALU_DEP_2)
	v_fmamk_f32 v248, v84, 0x3e3c28d5, v247
	v_fmac_f32_e32 v247, 0xbe3c28d5, v84
	v_dual_add_f32 v177, v248, v177 :: v_dual_mul_f32 v248, 0x3f2c7751, v139
	s_delay_alu instid0(VALU_DEP_1) | instskip(NEXT) | instid1(VALU_DEP_1)
	v_fmamk_f32 v249, v85, 0x3f3d2fb0, v248
	v_dual_add_f32 v178, v249, v178 :: v_dual_mul_f32 v249, 0x3f3d2fb0, v140
	v_mul_f32_e32 v140, 0xbe8c1d8e, v140
	v_mul_f32_e32 v251, 0xbf763a35, v96
	s_delay_alu instid0(VALU_DEP_3) | instskip(NEXT) | instid1(VALU_DEP_1)
	v_fmamk_f32 v250, v86, 0xbf2c7751, v249
	v_dual_add_f32 v250, v250, v177 :: v_dual_fmamk_f32 v177, v68, 0xbe8c1d8e, v251
	v_fmac_f32_e32 v205, 0x3eb8f4ab, v76
	s_delay_alu instid0(VALU_DEP_2) | instskip(SKIP_1) | instid1(VALU_DEP_3)
	v_add_f32_e32 v177, v177, v178
	v_fmamk_f32 v178, v69, 0x3f763a35, v252
	v_add_f32_e32 v90, v205, v90
	s_delay_alu instid0(VALU_DEP_2)
	v_add_f32_e32 v178, v178, v250
	ds_store_2addr_b64 v88, v[181:182], v[183:184] offset0:4 offset1:5
	ds_store_2addr_b64 v88, v[179:180], v[177:178] offset0:6 offset1:7
	v_fmamk_f32 v177, v73, 0x3f6eb680, v160
	v_fma_f32 v160, 0x3f6eb680, v73, -v160
	v_add_f32_e32 v90, v207, v90
	s_delay_alu instid0(VALU_DEP_3)
	v_dual_fmac_f32 v211, 0x3f4c4adb, v86 :: v_dual_add_f32 v176, v177, v176
	v_fmamk_f32 v177, v79, 0xbeb8f4ab, v156
	v_fmac_f32_e32 v156, 0x3eb8f4ab, v79
	v_add_f32_e32 v160, v160, v174
	v_add_f32_e32 v90, v209, v90
	v_fmac_f32_e32 v249, 0x3f2c7751, v86
	v_add_f32_e32 v175, v177, v175
	v_fmamk_f32 v177, v72, 0xbf59a7d5, v157
	v_add_f32_e32 v156, v156, v173
	v_fma_f32 v157, 0xbf59a7d5, v72, -v157
	v_add_f32_e32 v90, v211, v90
	s_delay_alu instid0(VALU_DEP_4) | instskip(SKIP_4) | instid1(VALU_DEP_4)
	v_dual_fmac_f32 v219, 0xbe3c28d5, v78 :: v_dual_add_f32 v176, v177, v176
	v_fmamk_f32 v177, v74, 0x3f06c442, v155
	v_fmac_f32_e32 v155, 0xbf06c442, v74
	v_add_f32_e32 v157, v157, v160
	v_dual_mul_f32 v139, 0xbf763a35, v139 :: v_dual_fmac_f32 v252, 0xbf763a35, v69
	v_add_f32_e32 v175, v177, v175
	v_fmamk_f32 v177, v80, 0x3f3d2fb0, v143
	v_add_f32_e32 v155, v155, v156
	s_delay_alu instid0(VALU_DEP_2) | instskip(SKIP_3) | instid1(VALU_DEP_3)
	v_dual_fmac_f32 v99, 0x3f2c7751, v69 :: v_dual_add_f32 v176, v177, v176
	v_fmamk_f32 v177, v76, 0xbf2c7751, v142
	v_fmac_f32_e32 v142, 0x3f2c7751, v76
	v_fma_f32 v143, 0x3f3d2fb0, v80, -v143
	v_add_f32_e32 v175, v177, v175
	s_delay_alu instid0(VALU_DEP_3) | instskip(NEXT) | instid1(VALU_DEP_3)
	v_dual_fmamk_f32 v177, v77, 0xbf1a4643, v141 :: v_dual_add_f32 v142, v142, v155
	v_add_f32_e32 v143, v143, v157
	v_fma_f32 v141, 0xbf1a4643, v77, -v141
	v_mul_f32_e32 v96, 0x3f7ee86f, v96
	s_delay_alu instid0(VALU_DEP_4) | instskip(NEXT) | instid1(VALU_DEP_3)
	v_dual_add_f32 v176, v177, v176 :: v_dual_mul_f32 v177, 0xbf1a4643, v93
	v_add_f32_e32 v141, v141, v143
	s_delay_alu instid0(VALU_DEP_2) | instskip(SKIP_1) | instid1(VALU_DEP_2)
	v_fmamk_f32 v93, v78, 0x3f4c4adb, v177
	v_fmac_f32_e32 v177, 0xbf4c4adb, v78
	v_add_f32_e32 v93, v93, v175
	v_mul_f32_e32 v175, 0x3f65296c, v94
	s_delay_alu instid0(VALU_DEP_3) | instskip(NEXT) | instid1(VALU_DEP_2)
	v_dual_add_f32 v142, v177, v142 :: v_dual_fmac_f32 v221, 0x3f7ee86f, v84
	v_fmamk_f32 v94, v91, 0x3ee437d1, v175
	v_fma_f32 v143, 0x3ee437d1, v91, -v175
	v_fmac_f32_e32 v217, 0xbf65296c, v76
	s_delay_alu instid0(VALU_DEP_3) | instskip(SKIP_3) | instid1(VALU_DEP_3)
	v_add_f32_e32 v94, v94, v176
	v_fmamk_f32 v176, v84, 0xbf65296c, v95
	v_fmac_f32_e32 v95, 0x3f65296c, v84
	v_add_f32_e32 v141, v143, v141
	v_dual_add_f32 v93, v176, v93 :: v_dual_fmamk_f32 v176, v85, 0xbe8c1d8e, v139
	s_delay_alu instid0(VALU_DEP_3) | instskip(SKIP_1) | instid1(VALU_DEP_3)
	v_add_f32_e32 v95, v95, v142
	v_fma_f32 v139, 0xbe8c1d8e, v85, -v139
	v_dual_fmac_f32 v225, 0x3f763a35, v79 :: v_dual_add_f32 v94, v176, v94
	v_fmamk_f32 v176, v86, 0x3f763a35, v140
	s_delay_alu instid0(VALU_DEP_3) | instskip(NEXT) | instid1(VALU_DEP_2)
	v_dual_fmac_f32 v140, 0xbf763a35, v86 :: v_dual_add_f32 v139, v139, v141
	v_dual_fmac_f32 v213, 0x3f06c442, v79 :: v_dual_add_f32 v176, v176, v93
	v_fmamk_f32 v93, v68, 0x3dbcf732, v96
	s_delay_alu instid0(VALU_DEP_3) | instskip(SKIP_1) | instid1(VALU_DEP_4)
	v_add_f32_e32 v95, v140, v95
	v_fma_f32 v96, 0x3dbcf732, v68, -v96
	v_add_f32_e32 v87, v213, v87
	s_delay_alu instid0(VALU_DEP_4) | instskip(SKIP_3) | instid1(VALU_DEP_3)
	v_add_f32_e32 v93, v93, v94
	v_fmamk_f32 v94, v69, 0xbf7ee86f, v97
	v_fmac_f32_e32 v97, 0x3f7ee86f, v69
	v_dual_add_f32 v139, v96, v139 :: v_dual_add_f32 v96, v225, v170
	v_dual_add_f32 v87, v215, v87 :: v_dual_add_f32 v94, v94, v176
	s_delay_alu instid0(VALU_DEP_3) | instskip(SKIP_2) | instid1(VALU_DEP_4)
	v_add_f32_e32 v140, v97, v95
	v_fma_f32 v95, 0xbe8c1d8e, v73, -v101
	v_fma_f32 v97, 0x3f6eb680, v72, -v226
	v_dual_add_f32 v96, v227, v96 :: v_dual_add_f32 v87, v217, v87
	v_fmac_f32_e32 v223, 0xbeb8f4ab, v86
	s_delay_alu instid0(VALU_DEP_4) | instskip(NEXT) | instid1(VALU_DEP_3)
	v_add_f32_e32 v95, v95, v171
	v_dual_add_f32 v96, v229, v96 :: v_dual_add_nc_u32 v69, 0x1000, v145
	s_delay_alu instid0(VALU_DEP_4) | instskip(NEXT) | instid1(VALU_DEP_3)
	v_add_f32_e32 v87, v219, v87
	v_add_f32_e32 v95, v97, v95
	v_fma_f32 v97, 0xbf59a7d5, v80, -v228
	s_delay_alu instid0(VALU_DEP_3) | instskip(NEXT) | instid1(VALU_DEP_2)
	v_dual_add_f32 v96, v231, v96 :: v_dual_add_f32 v87, v221, v87
	v_add_f32_e32 v95, v97, v95
	v_fma_f32 v97, 0x3dbcf732, v77, -v230
	s_delay_alu instid0(VALU_DEP_3) | instskip(NEXT) | instid1(VALU_DEP_2)
	v_dual_add_f32 v96, v233, v96 :: v_dual_add_f32 v87, v223, v87
	v_add_f32_e32 v95, v97, v95
	v_fma_f32 v97, 0x3f3d2fb0, v91, -v232
	s_delay_alu instid0(VALU_DEP_1) | instskip(SKIP_1) | instid1(VALU_DEP_2)
	v_dual_add_f32 v96, v235, v96 :: v_dual_add_f32 v95, v97, v95
	v_fma_f32 v97, 0xbf7ba420, v85, -v234
	v_add_f32_e32 v142, v238, v96
	s_delay_alu instid0(VALU_DEP_2) | instskip(SKIP_1) | instid1(VALU_DEP_2)
	v_dual_add_f32 v96, v239, v144 :: v_dual_add_f32 v95, v97, v95
	v_fma_f32 v97, 0x3ee437d1, v68, -v237
	v_add_f32_e32 v96, v241, v96
	s_delay_alu instid0(VALU_DEP_2) | instskip(SKIP_2) | instid1(VALU_DEP_4)
	v_add_f32_e32 v141, v97, v95
	v_fma_f32 v95, 0x3ee437d1, v73, -v236
	v_fma_f32 v97, 0x3dbcf732, v72, -v240
	v_add_f32_e32 v96, v243, v96
	s_delay_alu instid0(VALU_DEP_3) | instskip(NEXT) | instid1(VALU_DEP_2)
	v_add_f32_e32 v95, v95, v152
	v_add_f32_e32 v96, v245, v96
	s_delay_alu instid0(VALU_DEP_2) | instskip(SKIP_1) | instid1(VALU_DEP_1)
	v_add_f32_e32 v95, v97, v95
	v_fma_f32 v97, 0xbf1a4643, v80, -v242
	v_dual_add_f32 v96, v247, v96 :: v_dual_add_f32 v95, v97, v95
	v_fma_f32 v97, 0x3f6eb680, v77, -v244
	s_delay_alu instid0(VALU_DEP_2) | instskip(NEXT) | instid1(VALU_DEP_2)
	v_add_f32_e32 v96, v249, v96
	v_add_f32_e32 v95, v97, v95
	v_fma_f32 v97, 0xbf7ba420, v91, -v246
	s_delay_alu instid0(VALU_DEP_1) | instskip(SKIP_1) | instid1(VALU_DEP_1)
	v_dual_add_f32 v144, v252, v96 :: v_dual_add_f32 v95, v97, v95
	v_fma_f32 v97, 0x3f3d2fb0, v85, -v248
	v_add_f32_e32 v95, v97, v95
	v_fma_f32 v97, 0xbe8c1d8e, v68, -v251
	s_delay_alu instid0(VALU_DEP_1)
	v_add_f32_e32 v143, v97, v95
	ds_store_2addr_b64 v88, v[93:94], v[139:140] offset0:8 offset1:9
	ds_store_2addr_b64 v88, v[143:144], v[141:142] offset0:10 offset1:11
	v_fma_f32 v93, 0xbf7ba420, v73, -v147
	v_add_f32_e32 v142, v102, v82
	v_fma_f32 v82, 0xbf1a4643, v73, -v104
	v_add_f32_e32 v140, v108, v75
	v_add_f32_e32 v144, v172, v71
	;; [unrolled: 1-line block ×3, first 2 shown]
	v_fma_f32 v93, 0xbe8c1d8e, v72, -v186
	v_add_f32_e32 v81, v82, v81
	v_fma_f32 v82, 0xbf7ba420, v72, -v194
	s_delay_alu instid0(VALU_DEP_3) | instskip(SKIP_1) | instid1(VALU_DEP_3)
	v_dual_add_f32 v92, v93, v92 :: v_dual_add_nc_u32 v71, 0x2000, v145
	v_fma_f32 v93, 0x3f6eb680, v80, -v188
	v_add_f32_e32 v81, v82, v81
	v_fma_f32 v82, 0xbe8c1d8e, v80, -v196
	s_delay_alu instid0(VALU_DEP_3) | instskip(SKIP_1) | instid1(VALU_DEP_3)
	v_add_f32_e32 v92, v93, v92
	v_fma_f32 v93, 0x3ee437d1, v77, -v206
	v_add_f32_e32 v81, v82, v81
	v_fma_f32 v82, 0x3f3d2fb0, v77, -v198
	s_delay_alu instid0(VALU_DEP_3) | instskip(SKIP_1) | instid1(VALU_DEP_3)
	v_add_f32_e32 v92, v93, v92
	;; [unrolled: 5-line block ×4, first 2 shown]
	v_fma_f32 v93, 0x3f3d2fb0, v68, -v212
	v_add_f32_e32 v81, v82, v81
	v_fma_f32 v82, 0xbf59a7d5, v68, -v204
	s_delay_alu instid0(VALU_DEP_3) | instskip(SKIP_1) | instid1(VALU_DEP_3)
	v_dual_add_f32 v92, v93, v92 :: v_dual_add_f32 v93, v99, v90
	v_fma_f32 v90, 0xbf59a7d5, v73, -v146
	v_add_f32_e32 v139, v82, v81
	s_delay_alu instid0(VALU_DEP_2) | instskip(SKIP_1) | instid1(VALU_DEP_1)
	v_add_f32_e32 v89, v90, v89
	v_fma_f32 v90, 0x3f3d2fb0, v72, -v214
	v_add_f32_e32 v89, v90, v89
	v_fma_f32 v90, 0x3ee437d1, v80, -v216
	s_delay_alu instid0(VALU_DEP_1) | instskip(SKIP_1) | instid1(VALU_DEP_1)
	v_add_f32_e32 v89, v90, v89
	v_fma_f32 v90, 0xbf7ba420, v77, -v218
	v_add_f32_e32 v89, v90, v89
	v_fma_f32 v90, 0x3dbcf732, v91, -v220
	s_delay_alu instid0(VALU_DEP_1) | instskip(SKIP_1) | instid1(VALU_DEP_1)
	v_add_f32_e32 v89, v90, v89
	v_fma_f32 v90, 0x3f6eb680, v85, -v222
	v_add_f32_e32 v89, v90, v89
	v_fma_f32 v90, 0xbf1a4643, v68, -v224
	s_delay_alu instid0(VALU_DEP_1)
	v_add_f32_e32 v89, v90, v89
	v_add_f32_e32 v90, v98, v87
	v_fma_f32 v87, 0x3dbcf732, v73, -v100
	v_fma_f32 v73, 0x3f3d2fb0, v73, -v153
	ds_store_2addr_b64 v88, v[89:90], v[92:93] offset0:12 offset1:13
	v_add_f32_e32 v83, v87, v83
	v_fma_f32 v87, 0xbf1a4643, v72, -v105
	v_add_f32_e32 v70, v73, v70
	v_fma_f32 v72, 0x3ee437d1, v72, -v158
	s_delay_alu instid0(VALU_DEP_3) | instskip(SKIP_1) | instid1(VALU_DEP_3)
	v_add_f32_e32 v83, v87, v83
	v_fma_f32 v87, 0xbf7ba420, v80, -v107
	v_add_f32_e32 v70, v72, v70
	v_fma_f32 v72, 0x3dbcf732, v80, -v161
	s_delay_alu instid0(VALU_DEP_3) | instskip(SKIP_1) | instid1(VALU_DEP_3)
	;; [unrolled: 5-line block ×5, first 2 shown]
	v_add_f32_e32 v83, v87, v83
	v_fma_f32 v87, 0x3f6eb680, v68, -v192
	v_add_f32_e32 v70, v72, v70
	v_add_nc_u32_e32 v72, 0x3400, v145
	v_fma_f32 v68, 0xbf7ba420, v68, -v169
	s_delay_alu instid0(VALU_DEP_4) | instskip(NEXT) | instid1(VALU_DEP_2)
	v_add_f32_e32 v141, v87, v83
	v_dual_add_f32 v143, v68, v70 :: v_dual_add_nc_u32 v68, 0x800, v145
	v_add_nc_u32_e32 v70, 0x1800, v145
	ds_store_2addr_b64 v88, v[139:140], v[141:142] offset0:14 offset1:15
	ds_store_b64 v88, v[143:144] offset:128
	global_wb scope:SCOPE_SE
	s_wait_dscnt 0x0
	s_barrier_signal -1
	s_barrier_wait -1
	global_inv scope:SCOPE_SE
	ds_load_2addr_b64 v[92:95], v68 offset0:33 offset1:152
	ds_load_2addr_b64 v[88:91], v69 offset0:66 offset1:185
	;; [unrolled: 1-line block ×6, first 2 shown]
	ds_load_2addr_b64 v[68:71], v145 offset1:119
	s_and_saveexec_b32 s2, vcc_lo
	s_cbranch_execz .LBB0_7
; %bb.6:
	ds_load_b64 v[139:140], v145 offset:1904
	ds_load_b64 v[141:142], v145 offset:4216
	;; [unrolled: 1-line block ×7, first 2 shown]
.LBB0_7:
	s_wait_alu 0xfffe
	s_or_b32 exec_lo, exec_lo, s2
	s_wait_dscnt 0x6
	v_mul_f32_e32 v96, v33, v93
	v_mul_f32_e32 v33, v33, v92
	s_wait_dscnt 0x5
	v_mul_f32_e32 v97, v35, v89
	v_mul_f32_e32 v35, v35, v88
	global_wb scope:SCOPE_SE
	s_wait_dscnt 0x0
	v_fmac_f32_e32 v96, v32, v92
	v_fma_f32 v32, v32, v93, -v33
	v_fmac_f32_e32 v97, v34, v88
	v_fma_f32 v33, v34, v89, -v35
	v_mul_f32_e32 v34, v29, v85
	v_mul_f32_e32 v29, v29, v84
	;; [unrolled: 1-line block ×3, first 2 shown]
	v_dual_mul_f32 v31, v31, v80 :: v_dual_mul_f32 v88, v25, v77
	s_delay_alu instid0(VALU_DEP_4) | instskip(NEXT) | instid1(VALU_DEP_4)
	v_fmac_f32_e32 v34, v28, v84
	v_fma_f32 v28, v28, v85, -v29
	s_delay_alu instid0(VALU_DEP_4) | instskip(NEXT) | instid1(VALU_DEP_4)
	v_fmac_f32_e32 v35, v30, v80
	v_fma_f32 v29, v30, v81, -v31
	v_mul_f32_e32 v30, v27, v73
	v_dual_fmac_f32 v88, v24, v76 :: v_dual_mul_f32 v31, v21, v95
	v_dual_mul_f32 v27, v27, v72 :: v_dual_mul_f32 v80, v13, v79
	s_delay_alu instid0(VALU_DEP_3)
	v_dual_mul_f32 v21, v21, v94 :: v_dual_fmac_f32 v30, v26, v72
	v_mul_f32_e32 v72, v17, v87
	v_mul_f32_e32 v25, v25, v76
	v_fmac_f32_e32 v31, v20, v94
	v_mul_f32_e32 v17, v17, v86
	v_mul_f32_e32 v13, v13, v78
	v_fmac_f32_e32 v72, v16, v86
	v_fma_f32 v24, v24, v77, -v25
	v_fma_f32 v25, v26, v73, -v27
	;; [unrolled: 1-line block ×3, first 2 shown]
	v_mul_f32_e32 v20, v23, v90
	v_mul_f32_e32 v73, v19, v83
	v_dual_mul_f32 v27, v23, v91 :: v_dual_fmac_f32 v80, v12, v78
	v_mul_f32_e32 v81, v15, v75
	s_delay_alu instid0(VALU_DEP_4)
	v_fma_f32 v76, v22, v91, -v20
	v_add_f32_e32 v20, v34, v35
	v_fma_f32 v77, v16, v87, -v17
	v_mul_f32_e32 v16, v19, v82
	v_fma_f32 v78, v12, v79, -v13
	v_add_f32_e32 v13, v32, v25
	v_add_f32_e32 v12, v96, v30
	v_fmac_f32_e32 v73, v18, v82
	v_mul_f32_e32 v15, v15, v74
	v_fma_f32 v82, v18, v83, -v16
	v_dual_add_f32 v16, v97, v88 :: v_dual_fmac_f32 v27, v22, v90
	v_sub_f32_e32 v18, v97, v88
	v_dual_sub_f32 v22, v35, v34 :: v_dual_add_f32 v17, v33, v24
	v_sub_f32_e32 v23, v29, v28
	v_add_f32_e32 v21, v28, v29
	v_fmac_f32_e32 v81, v14, v74
	v_fma_f32 v74, v14, v75, -v15
	v_sub_f32_e32 v14, v96, v30
	v_sub_f32_e32 v15, v32, v25
	;; [unrolled: 1-line block ×3, first 2 shown]
	v_add_f32_e32 v24, v16, v12
	v_sub_f32_e32 v28, v16, v12
	v_sub_f32_e32 v30, v12, v20
	v_sub_f32_e32 v16, v20, v16
	v_dual_add_f32 v12, v22, v18 :: v_dual_add_f32 v25, v17, v13
	v_dual_sub_f32 v29, v17, v13 :: v_dual_add_f32 v20, v20, v24
	v_sub_f32_e32 v33, v22, v18
	v_sub_f32_e32 v22, v14, v22
	;; [unrolled: 1-line block ×5, first 2 shown]
	v_dual_sub_f32 v17, v21, v17 :: v_dual_add_f32 v14, v12, v14
	v_dual_add_f32 v13, v23, v19 :: v_dual_add_f32 v12, v68, v20
	v_dual_sub_f32 v23, v15, v23 :: v_dual_mul_f32 v24, 0x3f4a47b2, v30
	v_dual_add_f32 v21, v21, v25 :: v_dual_mul_f32 v34, 0x3f08b237, v34
	v_sub_f32_e32 v19, v19, v15
	v_mul_f32_e32 v25, 0x3f4a47b2, v32
	v_dual_add_f32 v15, v13, v15 :: v_dual_fmamk_f32 v20, v20, 0xbf955555, v12
	v_mul_f32_e32 v30, 0x3d64c772, v16
	v_mul_f32_e32 v32, 0x3d64c772, v17
	v_dual_add_f32 v13, v69, v21 :: v_dual_mul_f32 v68, 0xbf5ff5aa, v19
	v_dual_fmamk_f32 v16, v16, 0x3d64c772, v24 :: v_dual_fmamk_f32 v17, v17, 0x3d64c772, v25
	v_mul_f32_e32 v33, 0x3f08b237, v33
	v_fma_f32 v24, 0xbf3bfb3b, v28, -v24
	v_mul_f32_e32 v35, 0xbf5ff5aa, v18
	v_fma_f32 v30, 0x3f3bfb3b, v28, -v30
	v_fma_f32 v32, 0x3f3bfb3b, v29, -v32
	v_fmamk_f32 v28, v22, 0xbeae86e6, v33
	v_add_f32_e32 v24, v24, v20
	v_fma_f32 v35, 0x3eae86e6, v22, -v35
	v_fma_f32 v22, 0x3eae86e6, v23, -v68
	;; [unrolled: 1-line block ×3, first 2 shown]
	v_fmamk_f32 v29, v23, 0xbeae86e6, v34
	v_fma_f32 v34, 0xbf5ff5aa, v19, -v34
	s_delay_alu instid0(VALU_DEP_4) | instskip(SKIP_2) | instid1(VALU_DEP_4)
	v_dual_add_f32 v23, v30, v20 :: v_dual_fmac_f32 v22, 0xbee1c552, v15
	v_dual_fmamk_f32 v21, v21, 0xbf955555, v13 :: v_dual_add_f32 v68, v16, v20
	v_fma_f32 v33, 0xbf5ff5aa, v18, -v33
	v_fmac_f32_e32 v34, 0xbee1c552, v15
	s_delay_alu instid0(VALU_DEP_3) | instskip(SKIP_2) | instid1(VALU_DEP_4)
	v_dual_add_f32 v16, v22, v24 :: v_dual_add_f32 v25, v25, v21
	v_dual_add_f32 v69, v17, v21 :: v_dual_fmac_f32 v28, 0xbee1c552, v14
	v_dual_add_f32 v30, v32, v21 :: v_dual_fmac_f32 v29, 0xbee1c552, v15
	v_sub_f32_e32 v18, v23, v34
	v_fmac_f32_e32 v33, 0xbee1c552, v14
	v_dual_fmac_f32 v35, 0xbee1c552, v14 :: v_dual_add_f32 v20, v34, v23
	s_delay_alu instid0(VALU_DEP_4) | instskip(SKIP_1) | instid1(VALU_DEP_3)
	v_add_f32_e32 v14, v29, v68
	v_dual_sub_f32 v15, v69, v28 :: v_dual_sub_f32 v22, v24, v22
	v_dual_sub_f32 v17, v25, v35 :: v_dual_sub_f32 v24, v68, v29
	v_add_f32_e32 v19, v33, v30
	v_dual_sub_f32 v21, v30, v33 :: v_dual_add_f32 v32, v76, v78
	v_add_f32_e32 v23, v35, v25
	v_dual_add_f32 v25, v28, v69 :: v_dual_sub_f32 v68, v73, v72
	v_dual_add_f32 v28, v31, v81 :: v_dual_add_f32 v29, v26, v74
	v_sub_f32_e32 v30, v31, v81
	v_dual_add_f32 v31, v27, v80 :: v_dual_add_f32 v34, v72, v73
	v_dual_sub_f32 v26, v26, v74 :: v_dual_sub_f32 v27, v27, v80
	s_delay_alu instid0(VALU_DEP_2)
	v_dual_sub_f32 v33, v76, v78 :: v_dual_add_f32 v72, v31, v28
	v_dual_add_f32 v35, v77, v82 :: v_dual_sub_f32 v74, v31, v28
	v_sub_f32_e32 v69, v82, v77
	v_add_f32_e32 v73, v32, v29
	v_sub_f32_e32 v28, v28, v34
	v_dual_sub_f32 v75, v32, v29 :: v_dual_sub_f32 v80, v27, v30
	v_dual_sub_f32 v29, v29, v35 :: v_dual_sub_f32 v32, v35, v32
	v_dual_add_f32 v76, v68, v27 :: v_dual_add_f32 v77, v69, v33
	v_sub_f32_e32 v31, v34, v31
	v_dual_sub_f32 v78, v68, v27 :: v_dual_sub_f32 v79, v69, v33
	v_sub_f32_e32 v68, v30, v68
	v_dual_add_f32 v34, v34, v72 :: v_dual_add_f32 v35, v35, v73
	v_dual_sub_f32 v69, v26, v69 :: v_dual_add_f32 v72, v77, v26
	v_dual_sub_f32 v33, v33, v26 :: v_dual_mul_f32 v28, 0x3f4a47b2, v28
	v_add_f32_e32 v30, v76, v30
	s_delay_alu instid0(VALU_DEP_4) | instskip(SKIP_3) | instid1(VALU_DEP_4)
	v_dual_add_f32 v26, v70, v34 :: v_dual_add_f32 v27, v71, v35
	v_dual_mul_f32 v70, 0x3d64c772, v31 :: v_dual_mul_f32 v71, 0x3d64c772, v32
	v_dual_mul_f32 v73, 0x3f08b237, v78 :: v_dual_mul_f32 v76, 0x3f08b237, v79
	v_mul_f32_e32 v78, 0xbf5ff5aa, v33
	v_dual_fmamk_f32 v34, v34, 0xbf955555, v26 :: v_dual_fmamk_f32 v35, v35, 0xbf955555, v27
	v_fmamk_f32 v31, v31, 0x3d64c772, v28
	v_mul_f32_e32 v29, 0x3f4a47b2, v29
	v_fma_f32 v71, 0x3f3bfb3b, v75, -v71
	v_mul_f32_e32 v77, 0xbf5ff5aa, v80
	v_fma_f32 v70, 0x3f3bfb3b, v74, -v70
	v_fma_f32 v28, 0xbf3bfb3b, v74, -v28
	v_fmamk_f32 v74, v68, 0xbeae86e6, v73
	v_fma_f32 v73, 0xbf5ff5aa, v80, -v73
	v_fma_f32 v77, 0x3eae86e6, v68, -v77
	;; [unrolled: 1-line block ×3, first 2 shown]
	v_add_f32_e32 v78, v31, v34
	v_fmamk_f32 v32, v32, 0x3d64c772, v29
	v_fma_f32 v29, 0xbf3bfb3b, v75, -v29
	v_fmamk_f32 v75, v69, 0xbeae86e6, v76
	v_fma_f32 v76, 0xbf5ff5aa, v33, -v76
	v_dual_add_f32 v69, v70, v34 :: v_dual_add_f32 v70, v71, v35
	s_delay_alu instid0(VALU_DEP_4)
	v_dual_add_f32 v80, v29, v35 :: v_dual_add_f32 v71, v28, v34
	v_fmac_f32_e32 v68, 0xbee1c552, v72
	v_fmac_f32_e32 v75, 0xbee1c552, v72
	v_dual_fmac_f32 v73, 0xbee1c552, v30 :: v_dual_fmac_f32 v76, 0xbee1c552, v72
	s_barrier_signal -1
	s_barrier_wait -1
	global_inv scope:SCOPE_SE
	scratch_load_b32 v72, off, off offset:72 th:TH_LOAD_LU ; 4-byte Folded Reload
	v_dual_add_f32 v79, v32, v35 :: v_dual_fmac_f32 v74, 0xbee1c552, v30
	v_dual_fmac_f32 v77, 0xbee1c552, v30 :: v_dual_sub_f32 v32, v69, v76
	v_add_f32_e32 v30, v68, v71
	v_add_f32_e32 v28, v75, v78
	s_delay_alu instid0(VALU_DEP_4) | instskip(NEXT) | instid1(VALU_DEP_4)
	v_dual_sub_f32 v29, v79, v74 :: v_dual_add_f32 v34, v76, v69
	v_sub_f32_e32 v31, v80, v77
	v_dual_add_f32 v33, v73, v70 :: v_dual_sub_f32 v68, v71, v68
	v_sub_f32_e32 v35, v70, v73
	v_dual_add_f32 v69, v77, v80 :: v_dual_sub_f32 v70, v78, v75
	v_add_f32_e32 v71, v74, v79
	s_wait_loadcnt 0x0
	ds_store_2addr_b64 v72, v[12:13], v[14:15] offset1:17
	ds_store_2addr_b64 v72, v[16:17], v[18:19] offset0:34 offset1:51
	ds_store_2addr_b64 v72, v[20:21], v[22:23] offset0:68 offset1:85
	ds_store_b64 v72, v[24:25] offset:816
	scratch_load_b32 v12, off, off offset:68 th:TH_LOAD_LU ; 4-byte Folded Reload
	s_wait_loadcnt 0x0
	ds_store_2addr_b64 v12, v[26:27], v[28:29] offset1:17
	ds_store_2addr_b64 v12, v[30:31], v[32:33] offset0:34 offset1:51
	ds_store_2addr_b64 v12, v[34:35], v[68:69] offset0:68 offset1:85
	ds_store_b64 v12, v[70:71] offset:816
	s_and_saveexec_b32 s2, vcc_lo
	s_cbranch_execz .LBB0_9
; %bb.8:
	v_dual_mul_f32 v12, v3, v134 :: v_dual_mul_f32 v13, v1, v132
	v_mul_f32_e32 v14, v5, v142
	v_mul_f32_e32 v15, v11, v138
	s_delay_alu instid0(VALU_DEP_3) | instskip(NEXT) | instid1(VALU_DEP_4)
	v_dual_mul_f32 v1, v1, v131 :: v_dual_fmac_f32 v12, v2, v133
	v_fmac_f32_e32 v13, v0, v131
	s_delay_alu instid0(VALU_DEP_4) | instskip(NEXT) | instid1(VALU_DEP_4)
	v_fmac_f32_e32 v14, v4, v141
	v_dual_mul_f32 v16, v7, v144 :: v_dual_fmac_f32 v15, v10, v137
	s_delay_alu instid0(VALU_DEP_3) | instskip(SKIP_2) | instid1(VALU_DEP_4)
	v_dual_mul_f32 v18, v9, v136 :: v_dual_sub_f32 v17, v12, v13
	v_mul_f32_e32 v5, v5, v141
	v_mul_f32_e32 v9, v9, v135
	v_dual_mul_f32 v11, v11, v137 :: v_dual_fmac_f32 v16, v6, v143
	s_delay_alu instid0(VALU_DEP_4) | instskip(NEXT) | instid1(VALU_DEP_4)
	v_fmac_f32_e32 v18, v8, v135
	v_fma_f32 v4, v4, v142, -v5
	s_delay_alu instid0(VALU_DEP_4) | instskip(SKIP_4) | instid1(VALU_DEP_4)
	v_fma_f32 v5, v8, v136, -v9
	v_mul_f32_e32 v7, v7, v143
	v_fma_f32 v10, v10, v138, -v11
	v_fma_f32 v0, v0, v132, -v1
	v_dual_sub_f32 v11, v14, v15 :: v_dual_add_f32 v14, v15, v14
	v_fma_f32 v6, v6, v144, -v7
	s_delay_alu instid0(VALU_DEP_4) | instskip(SKIP_2) | instid1(VALU_DEP_4)
	v_add_f32_e32 v7, v10, v4
	v_add_f32_e32 v12, v13, v12
	;; [unrolled: 1-line block ×3, first 2 shown]
	v_dual_sub_f32 v21, v11, v17 :: v_dual_add_f32 v8, v5, v6
	v_dual_mul_f32 v3, v3, v133 :: v_dual_sub_f32 v4, v4, v10
	s_delay_alu instid0(VALU_DEP_1) | instskip(NEXT) | instid1(VALU_DEP_3)
	v_fma_f32 v2, v2, v134, -v3
	v_add_f32_e32 v3, v8, v7
	s_delay_alu instid0(VALU_DEP_2) | instskip(SKIP_3) | instid1(VALU_DEP_4)
	v_add_f32_e32 v1, v0, v2
	v_dual_sub_f32 v9, v16, v18 :: v_dual_sub_f32 v16, v14, v12
	v_add_f32_e32 v18, v13, v14
	v_sub_f32_e32 v2, v2, v0
	v_sub_f32_e32 v20, v7, v1
	s_delay_alu instid0(VALU_DEP_4) | instskip(SKIP_2) | instid1(VALU_DEP_4)
	v_sub_f32_e32 v19, v17, v9
	v_dual_add_f32 v17, v17, v9 :: v_dual_mul_f32 v16, 0x3f4a47b2, v16
	v_sub_f32_e32 v22, v1, v8
	v_mul_f32_e32 v20, 0x3f4a47b2, v20
	s_delay_alu instid0(VALU_DEP_4) | instskip(NEXT) | instid1(VALU_DEP_4)
	v_mul_f32_e32 v19, 0x3f08b237, v19
	v_add_f32_e32 v17, v17, v11
	v_sub_f32_e32 v9, v9, v11
	s_delay_alu instid0(VALU_DEP_4) | instskip(SKIP_4) | instid1(VALU_DEP_3)
	v_dual_sub_f32 v11, v4, v2 :: v_dual_fmamk_f32 v24, v22, 0x3d64c772, v20
	v_add_f32_e32 v3, v1, v3
	v_sub_f32_e32 v5, v6, v5
	v_dual_sub_f32 v6, v12, v13 :: v_dual_fmamk_f32 v23, v21, 0xbeae86e6, v19
	v_add_f32_e32 v12, v12, v18
	v_dual_add_f32 v1, v140, v3 :: v_dual_sub_f32 v10, v2, v5
	v_mul_f32_e32 v15, 0x3d64c772, v22
	s_delay_alu instid0(VALU_DEP_3) | instskip(NEXT) | instid1(VALU_DEP_3)
	v_dual_fmac_f32 v23, 0xbee1c552, v17 :: v_dual_add_f32 v0, v139, v12
	v_fmamk_f32 v25, v3, 0xbf955555, v1
	v_mul_f32_e32 v18, 0x3d64c772, v6
	v_fmamk_f32 v6, v6, 0x3d64c772, v16
	v_mul_f32_e32 v10, 0x3f08b237, v10
	s_delay_alu instid0(VALU_DEP_4) | instskip(NEXT) | instid1(VALU_DEP_2)
	v_add_f32_e32 v24, v24, v25
	v_fmamk_f32 v26, v11, 0xbeae86e6, v10
	s_delay_alu instid0(VALU_DEP_2) | instskip(SKIP_2) | instid1(VALU_DEP_3)
	v_dual_add_f32 v2, v2, v5 :: v_dual_add_f32 v3, v23, v24
	v_dual_mul_f32 v22, 0xbf5ff5aa, v9 :: v_dual_sub_f32 v7, v8, v7
	v_fmamk_f32 v8, v12, 0xbf955555, v0
	v_add_f32_e32 v2, v2, v4
	v_fma_f32 v9, 0xbf5ff5aa, v9, -v19
	s_delay_alu instid0(VALU_DEP_4)
	v_fma_f32 v12, 0x3eae86e6, v21, -v22
	v_fma_f32 v20, 0xbf3bfb3b, v7, -v20
	v_sub_f32_e32 v21, v5, v4
	v_sub_f32_e32 v13, v13, v14
	v_fmac_f32_e32 v9, 0xbee1c552, v17
	v_fmac_f32_e32 v12, 0xbee1c552, v17
	v_add_f32_e32 v14, v20, v25
	v_mul_f32_e32 v4, 0xbf5ff5aa, v21
	v_fma_f32 v16, 0xbf3bfb3b, v13, -v16
	s_delay_alu instid0(VALU_DEP_3) | instskip(NEXT) | instid1(VALU_DEP_3)
	v_dual_add_f32 v20, v6, v8 :: v_dual_add_f32 v5, v12, v14
	v_fma_f32 v6, 0x3eae86e6, v11, -v4
	v_fma_f32 v4, 0x3f3bfb3b, v7, -v15
	;; [unrolled: 1-line block ×3, first 2 shown]
	v_add_f32_e32 v16, v16, v8
	v_fma_f32 v7, 0x3f3bfb3b, v13, -v18
	v_fmac_f32_e32 v26, 0xbee1c552, v2
	v_dual_add_f32 v10, v4, v25 :: v_dual_sub_f32 v11, v14, v12
	v_fmac_f32_e32 v6, 0xbee1c552, v2
	v_fmac_f32_e32 v15, 0xbee1c552, v2
	s_clause 0x1
	scratch_load_b32 v2, off, off offset:60 th:TH_LOAD_LU
	scratch_load_b32 v4, off, off offset:64 th:TH_LOAD_LU
	v_add_f32_e32 v17, v7, v8
	v_sub_f32_e32 v7, v10, v9
	v_dual_add_f32 v9, v9, v10 :: v_dual_add_f32 v12, v26, v20
	v_add_f32_e32 v10, v6, v16
	s_delay_alu instid0(VALU_DEP_4)
	v_sub_f32_e32 v8, v17, v15
	v_sub_f32_e32 v13, v24, v23
	s_wait_loadcnt 0x0
	v_mad_u16 v2, 0x77, v2, v4
	v_sub_f32_e32 v4, v16, v6
	v_add_f32_e32 v6, v15, v17
	s_delay_alu instid0(VALU_DEP_3) | instskip(NEXT) | instid1(VALU_DEP_1)
	v_and_b32_e32 v2, 0xffff, v2
	v_lshlrev_b32_e32 v14, 3, v2
	v_sub_f32_e32 v2, v20, v26
	ds_store_2addr_b64 v14, v[0:1], v[12:13] offset1:17
	ds_store_2addr_b64 v14, v[10:11], v[8:9] offset0:34 offset1:51
	ds_store_2addr_b64 v14, v[6:7], v[4:5] offset0:68 offset1:85
	ds_store_b64 v14, v[2:3] offset:816
.LBB0_9:
	s_wait_alu 0xfffe
	s_or_b32 exec_lo, exec_lo, s2
	global_wb scope:SCOPE_SE
	s_wait_dscnt 0x0
	s_barrier_signal -1
	s_barrier_wait -1
	global_inv scope:SCOPE_SE
	ds_load_2addr_b64 v[27:30], v145 offset1:119
	v_add_nc_u32_e32 v8, 0x400, v145
	v_add_nc_u32_e32 v7, 0xc00, v145
	s_mov_b32 s2, 0x2e50bc4c
	s_mov_b32 s3, 0x3f40329e
	s_wait_dscnt 0x0
	v_mul_f32_e32 v35, v37, v30
	ds_load_2addr_b64 v[9:12], v8 offset0:110 offset1:229
	ds_load_2addr_b64 v[13:16], v7 offset0:92 offset1:211
	v_mul_f32_e32 v17, v37, v29
	v_add_nc_u32_e32 v6, 0x1400, v145
	v_add_nc_u32_e32 v5, 0x1c00, v145
	v_fmac_f32_e32 v35, v36, v29
	v_add_nc_u32_e32 v3, 0x2c00, v145
	v_fma_f32 v29, v36, v30, -v17
	v_add_nc_u32_e32 v4, 0x2400, v145
	s_wait_dscnt 0x1
	v_mul_f32_e32 v36, v65, v12
	s_wait_dscnt 0x0
	v_mul_f32_e32 v21, v61, v16
	v_mul_f32_e32 v25, v67, v14
	ds_load_b64 v[0:1], v145 offset:15232
	ds_load_2addr_b64 v[31:34], v6 offset0:74 offset1:193
	ds_load_2addr_b64 v[68:71], v5 offset0:56 offset1:175
	v_mul_f32_e32 v17, v39, v9
	v_add_nc_u32_e32 v2, 0x3000, v145
	v_mul_f32_e32 v30, v39, v10
	v_mul_f32_e32 v18, v65, v11
	v_fmac_f32_e32 v36, v64, v11
	v_fma_f32 v37, v38, v10, -v17
	v_mul_f32_e32 v10, v61, v15
	v_dual_fmac_f32 v30, v38, v9 :: v_dual_fmac_f32 v21, v60, v15
	v_fma_f32 v38, v64, v12, -v18
	v_dual_add_f32 v12, v28, v29 :: v_dual_add_f32 v11, v27, v35
	s_delay_alu instid0(VALU_DEP_4) | instskip(NEXT) | instid1(VALU_DEP_2)
	v_fma_f32 v22, v60, v16, -v10
	v_add_f32_e32 v12, v12, v37
	v_mul_f32_e32 v9, v67, v13
	s_delay_alu instid0(VALU_DEP_4)
	v_add_f32_e32 v11, v11, v30
	s_wait_dscnt 0x1
	v_mul_f32_e32 v17, v63, v32
	ds_load_2addr_b64 v[72:75], v4 offset0:38 offset1:157
	ds_load_2addr_b64 v[76:79], v3 offset0:20 offset1:139
	;; [unrolled: 1-line block ×3, first 2 shown]
	v_fmac_f32_e32 v25, v66, v13
	v_mul_f32_e32 v10, v41, v33
	v_dual_add_f32 v16, v11, v36 :: v_dual_fmac_f32 v17, v62, v31
	v_add_f32_e32 v12, v12, v38
	v_fma_f32 v26, v66, v14, -v9
	v_mul_f32_e32 v9, v63, v31
	s_wait_dscnt 0x3
	v_mul_f32_e32 v15, v43, v68
	v_dual_mul_f32 v13, v41, v34 :: v_dual_add_f32 v16, v16, v25
	v_fma_f32 v14, v40, v34, -v10
	v_fma_f32 v18, v62, v32, -v9
	v_dual_mul_f32 v10, v49, v71 :: v_dual_mul_f32 v9, v43, v69
	v_add_f32_e32 v20, v12, v26
	v_fma_f32 v11, v42, v69, -v15
	v_add_f32_e32 v24, v16, v21
	s_delay_alu instid0(VALU_DEP_4)
	v_dual_fmac_f32 v10, v48, v70 :: v_dual_fmac_f32 v9, v42, v68
	s_wait_dscnt 0x2
	v_dual_add_f32 v20, v20, v22 :: v_dual_mul_f32 v15, v51, v73
	s_wait_dscnt 0x1
	v_dual_fmac_f32 v13, v40, v33 :: v_dual_mul_f32 v34, v57, v79
	v_dual_mul_f32 v19, v49, v70 :: v_dual_add_f32 v24, v24, v17
	s_delay_alu instid0(VALU_DEP_3) | instskip(SKIP_1) | instid1(VALU_DEP_3)
	v_dual_add_f32 v20, v20, v18 :: v_dual_fmac_f32 v15, v50, v72
	v_mul_f32_e32 v23, v51, v72
	v_fma_f32 v12, v48, v71, -v19
	s_delay_alu instid0(VALU_DEP_4) | instskip(NEXT) | instid1(VALU_DEP_4)
	v_add_f32_e32 v24, v24, v13
	v_add_f32_e32 v32, v20, v14
	v_mul_f32_e32 v31, v45, v74
	v_fma_f32 v16, v50, v73, -v23
	v_dual_mul_f32 v23, v47, v77 :: v_dual_fmac_f32 v34, v56, v78
	s_delay_alu instid0(VALU_DEP_4)
	v_add_f32_e32 v32, v32, v11
	v_mul_f32_e32 v19, v45, v75
	v_fma_f32 v20, v44, v75, -v31
	v_mul_f32_e32 v31, v47, v76
	v_dual_add_f32 v33, v24, v9 :: v_dual_mul_f32 v42, v55, v0
	v_add_f32_e32 v32, v32, v12
	s_wait_dscnt 0x0
	v_dual_fmac_f32 v19, v44, v74 :: v_dual_mul_f32 v40, v59, v80
	v_dual_fmac_f32 v23, v46, v76 :: v_dual_mul_f32 v44, v53, v82
	s_delay_alu instid0(VALU_DEP_3)
	v_dual_mul_f32 v39, v57, v78 :: v_dual_add_f32 v32, v32, v16
	v_fma_f32 v24, v46, v77, -v31
	v_add_f32_e32 v31, v33, v10
	v_mul_f32_e32 v43, v55, v1
	v_fma_f32 v1, v54, v1, -v42
	v_fma_f32 v33, v56, v79, -v39
	v_dual_add_f32 v32, v32, v20 :: v_dual_mul_f32 v39, v59, v81
	v_add_f32_e32 v31, v31, v15
	v_fma_f32 v42, v52, v83, -v44
	v_sub_f32_e32 v44, v29, v1
	v_add_f32_e32 v29, v29, v1
	v_dual_mul_f32 v41, v53, v83 :: v_dual_add_f32 v32, v32, v24
	v_fmac_f32_e32 v43, v54, v0
	s_delay_alu instid0(VALU_DEP_3) | instskip(NEXT) | instid1(VALU_DEP_3)
	v_dual_fmac_f32 v39, v58, v80 :: v_dual_mul_f32 v46, 0x3f6eb680, v29
	v_fmac_f32_e32 v41, v52, v82
	v_add_f32_e32 v31, v31, v19
	v_fma_f32 v40, v58, v81, -v40
	v_add_f32_e32 v32, v32, v33
	v_mul_f32_e32 v52, 0x3ee437d1, v29
	s_delay_alu instid0(VALU_DEP_4)
	v_dual_mul_f32 v62, 0xbf4c4adb, v44 :: v_dual_add_f32 v31, v31, v23
	v_mul_f32_e32 v50, 0xbf65296c, v44
	v_mul_f32_e32 v58, 0xbf763a35, v44
	v_sub_f32_e32 v72, v37, v42
	v_add_f32_e32 v37, v37, v42
	v_add_f32_e32 v31, v31, v34
	s_delay_alu instid0(VALU_DEP_1) | instskip(SKIP_1) | instid1(VALU_DEP_2)
	v_dual_add_f32 v0, v31, v39 :: v_dual_add_f32 v31, v32, v40
	v_add_f32_e32 v32, v35, v43
	v_dual_sub_f32 v35, v35, v43 :: v_dual_add_f32 v0, v0, v41
	s_delay_alu instid0(VALU_DEP_2) | instskip(NEXT) | instid1(VALU_DEP_2)
	v_fmamk_f32 v65, v32, 0xbf1a4643, v62
	v_fmamk_f32 v54, v35, 0x3f65296c, v52
	v_add_f32_e32 v31, v31, v42
	v_mul_f32_e32 v45, 0xbeb8f4ab, v44
	v_fma_f32 v62, 0xbf1a4643, v32, -v62
	v_fmamk_f32 v53, v32, 0x3ee437d1, v50
	v_fma_f32 v50, 0x3ee437d1, v32, -v50
	v_add_f32_e32 v1, v31, v1
	v_dual_mul_f32 v31, 0xbf2c7751, v44 :: v_dual_add_f32 v54, v28, v54
	v_fmamk_f32 v60, v32, 0xbe8c1d8e, v58
	s_delay_alu instid0(VALU_DEP_4) | instskip(SKIP_1) | instid1(VALU_DEP_4)
	v_add_f32_e32 v50, v27, v50
	v_fma_f32 v58, 0xbe8c1d8e, v32, -v58
	v_fmamk_f32 v48, v32, 0x3f3d2fb0, v31
	v_fmamk_f32 v47, v32, 0x3f6eb680, v45
	v_fma_f32 v45, 0x3f6eb680, v32, -v45
	v_mul_f32_e32 v56, 0x3dbcf732, v29
	v_fma_f32 v31, 0x3f3d2fb0, v32, -v31
	v_add_f32_e32 v48, v27, v48
	v_add_f32_e32 v47, v27, v47
	;; [unrolled: 1-line block ×3, first 2 shown]
	v_fmamk_f32 v59, v35, 0x3f7ee86f, v56
	v_fmac_f32_e32 v56, 0xbf7ee86f, v35
	v_mul_f32_e32 v67, 0xbf06c442, v44
	v_mul_f32_e32 v49, 0x3f3d2fb0, v29
	v_add_f32_e32 v31, v27, v31
	v_fmac_f32_e32 v52, 0xbf65296c, v35
	v_add_f32_e32 v56, v28, v56
	v_fmamk_f32 v69, v32, 0xbf59a7d5, v67
	v_fma_f32 v67, 0xbf59a7d5, v32, -v67
	v_mul_f32_e32 v64, 0xbf1a4643, v29
	v_dual_add_f32 v0, v0, v43 :: v_dual_fmamk_f32 v43, v35, 0x3eb8f4ab, v46
	s_delay_alu instid0(VALU_DEP_3) | instskip(NEXT) | instid1(VALU_DEP_3)
	v_dual_add_f32 v52, v28, v52 :: v_dual_add_f32 v67, v27, v67
	v_fmamk_f32 v66, v35, 0x3f4c4adb, v64
	v_fmamk_f32 v51, v35, 0x3f2c7751, v49
	v_dual_fmac_f32 v49, 0xbf2c7751, v35 :: v_dual_add_f32 v58, v27, v58
	v_fmac_f32_e32 v64, 0xbf4c4adb, v35
	s_delay_alu instid0(VALU_DEP_4) | instskip(NEXT) | instid1(VALU_DEP_4)
	v_add_f32_e32 v66, v28, v66
	v_dual_add_f32 v51, v28, v51 :: v_dual_mul_f32 v68, 0xbf59a7d5, v29
	s_delay_alu instid0(VALU_DEP_4) | instskip(SKIP_3) | instid1(VALU_DEP_3)
	v_add_f32_e32 v49, v28, v49
	v_mul_f32_e32 v61, 0xbe8c1d8e, v29
	v_dual_mul_f32 v29, 0xbf7ba420, v29 :: v_dual_add_f32 v62, v27, v62
	v_dual_add_f32 v53, v27, v53 :: v_dual_add_f32 v64, v28, v64
	v_fmamk_f32 v63, v35, 0x3f763a35, v61
	s_delay_alu instid0(VALU_DEP_3)
	v_fmamk_f32 v73, v35, 0x3e3c28d5, v29
	v_fmac_f32_e32 v29, 0xbe3c28d5, v35
	v_fmac_f32_e32 v61, 0xbf763a35, v35
	v_fmamk_f32 v70, v35, 0x3f06c442, v68
	v_mul_f32_e32 v55, 0xbf7ee86f, v44
	v_dual_add_f32 v65, v27, v65 :: v_dual_fmac_f32 v68, 0xbf06c442, v35
	s_delay_alu instid0(VALU_DEP_4) | instskip(NEXT) | instid1(VALU_DEP_4)
	v_add_f32_e32 v61, v28, v61
	v_add_f32_e32 v70, v28, v70
	s_delay_alu instid0(VALU_DEP_4)
	v_fmamk_f32 v57, v32, 0x3dbcf732, v55
	v_fma_f32 v55, 0x3dbcf732, v32, -v55
	v_mul_f32_e32 v44, 0xbe3c28d5, v44
	v_add_f32_e32 v68, v28, v68
	v_dual_add_f32 v59, v28, v59 :: v_dual_add_f32 v42, v30, v41
	v_add_f32_e32 v57, v27, v57
	v_add_f32_e32 v55, v27, v55
	v_fmamk_f32 v71, v32, 0xbf7ba420, v44
	v_fma_f32 v32, 0xbf7ba420, v32, -v44
	v_mul_f32_e32 v44, 0xbf2c7751, v72
	v_fmac_f32_e32 v46, 0xbeb8f4ab, v35
	v_dual_add_f32 v43, v28, v43 :: v_dual_add_f32 v60, v27, v60
	v_sub_f32_e32 v30, v30, v41
	v_mul_f32_e32 v35, 0x3f3d2fb0, v37
	v_mul_f32_e32 v74, 0xbf1a4643, v37
	v_add_f32_e32 v41, v28, v73
	v_dual_fmamk_f32 v73, v42, 0x3f3d2fb0, v44 :: v_dual_add_f32 v46, v28, v46
	v_add_f32_e32 v63, v28, v63
	v_add_f32_e32 v69, v27, v69
	v_dual_add_f32 v28, v28, v29 :: v_dual_fmamk_f32 v29, v30, 0x3f2c7751, v35
	s_delay_alu instid0(VALU_DEP_4)
	v_add_f32_e32 v47, v73, v47
	v_fma_f32 v44, 0x3f3d2fb0, v42, -v44
	v_fmac_f32_e32 v35, 0xbf2c7751, v30
	v_mul_f32_e32 v73, 0x3dbcf732, v37
	v_add_f32_e32 v71, v27, v71
	v_add_f32_e32 v27, v27, v32
	v_dual_mul_f32 v32, 0xbf7ee86f, v72 :: v_dual_add_f32 v29, v29, v43
	v_dual_add_f32 v44, v44, v45 :: v_dual_add_f32 v35, v35, v46
	v_mul_f32_e32 v45, 0xbf4c4adb, v72
	v_fmamk_f32 v46, v30, 0x3f7ee86f, v73
	s_delay_alu instid0(VALU_DEP_4) | instskip(SKIP_1) | instid1(VALU_DEP_3)
	v_fmamk_f32 v43, v42, 0x3dbcf732, v32
	v_fma_f32 v32, 0x3dbcf732, v42, -v32
	v_dual_fmac_f32 v73, 0xbf7ee86f, v30 :: v_dual_add_f32 v46, v46, v51
	s_delay_alu instid0(VALU_DEP_3) | instskip(NEXT) | instid1(VALU_DEP_2)
	v_dual_add_f32 v43, v43, v48 :: v_dual_fmamk_f32 v48, v42, 0xbf1a4643, v45
	v_dual_add_f32 v31, v32, v31 :: v_dual_add_f32 v32, v73, v49
	v_fmamk_f32 v49, v30, 0x3f4c4adb, v74
	s_delay_alu instid0(VALU_DEP_3) | instskip(SKIP_3) | instid1(VALU_DEP_4)
	v_dual_mul_f32 v51, 0xbe3c28d5, v72 :: v_dual_add_f32 v48, v48, v53
	v_fma_f32 v45, 0xbf1a4643, v42, -v45
	v_fmac_f32_e32 v74, 0xbf4c4adb, v30
	v_mul_f32_e32 v53, 0xbf7ba420, v37
	v_dual_add_f32 v49, v49, v54 :: v_dual_fmamk_f32 v54, v42, 0xbf7ba420, v51
	s_delay_alu instid0(VALU_DEP_3) | instskip(NEXT) | instid1(VALU_DEP_3)
	v_dual_add_f32 v45, v45, v50 :: v_dual_add_f32 v50, v74, v52
	v_fmamk_f32 v52, v30, 0x3e3c28d5, v53
	v_mul_f32_e32 v74, 0xbe8c1d8e, v37
	s_delay_alu instid0(VALU_DEP_4) | instskip(NEXT) | instid1(VALU_DEP_3)
	v_dual_mul_f32 v73, 0x3f06c442, v72 :: v_dual_add_f32 v54, v54, v57
	v_dual_fmac_f32 v53, 0xbe3c28d5, v30 :: v_dual_add_f32 v52, v52, v59
	v_mul_f32_e32 v59, 0xbf59a7d5, v37
	s_delay_alu instid0(VALU_DEP_3) | instskip(SKIP_1) | instid1(VALU_DEP_4)
	v_fmamk_f32 v57, v42, 0xbf59a7d5, v73
	v_fma_f32 v51, 0xbf7ba420, v42, -v51
	v_add_f32_e32 v53, v53, v56
	s_delay_alu instid0(VALU_DEP_3) | instskip(SKIP_2) | instid1(VALU_DEP_3)
	v_dual_add_f32 v56, v57, v60 :: v_dual_fmamk_f32 v57, v30, 0xbf06c442, v59
	v_fmac_f32_e32 v59, 0x3f06c442, v30
	v_fma_f32 v60, 0xbf59a7d5, v42, -v73
	v_add_f32_e32 v57, v57, v63
	s_delay_alu instid0(VALU_DEP_3) | instskip(SKIP_1) | instid1(VALU_DEP_4)
	v_add_f32_e32 v59, v59, v61
	v_fmamk_f32 v61, v30, 0xbf763a35, v74
	v_dual_mul_f32 v63, 0x3f65296c, v72 :: v_dual_add_f32 v58, v60, v58
	v_fmac_f32_e32 v74, 0x3f763a35, v30
	s_delay_alu instid0(VALU_DEP_2) | instskip(SKIP_1) | instid1(VALU_DEP_3)
	v_dual_add_f32 v61, v61, v66 :: v_dual_fmamk_f32 v66, v42, 0x3ee437d1, v63
	v_fma_f32 v63, 0x3ee437d1, v42, -v63
	v_add_f32_e32 v64, v74, v64
	s_delay_alu instid0(VALU_DEP_2) | instskip(SKIP_4) | instid1(VALU_DEP_2)
	v_dual_add_f32 v66, v66, v69 :: v_dual_add_f32 v63, v63, v67
	v_sub_f32_e32 v67, v38, v40
	v_dual_add_f32 v38, v38, v40 :: v_dual_add_f32 v51, v51, v55
	v_mul_f32_e32 v55, 0x3f763a35, v72
	v_mul_f32_e32 v72, 0x3eb8f4ab, v72
	v_fmamk_f32 v73, v42, 0xbe8c1d8e, v55
	v_fma_f32 v55, 0xbe8c1d8e, v42, -v55
	s_delay_alu instid0(VALU_DEP_3) | instskip(NEXT) | instid1(VALU_DEP_3)
	v_fma_f32 v40, 0x3f6eb680, v42, -v72
	v_add_f32_e32 v60, v73, v65
	v_mul_f32_e32 v65, 0x3ee437d1, v37
	s_delay_alu instid0(VALU_DEP_1) | instskip(SKIP_1) | instid1(VALU_DEP_2)
	v_dual_add_f32 v55, v55, v62 :: v_dual_fmamk_f32 v62, v30, 0xbf65296c, v65
	v_fmac_f32_e32 v65, 0x3f65296c, v30
	v_add_f32_e32 v62, v62, v70
	v_dual_fmamk_f32 v69, v42, 0x3f6eb680, v72 :: v_dual_add_f32 v70, v36, v39
	v_mul_f32_e32 v37, 0x3f6eb680, v37
	s_delay_alu instid0(VALU_DEP_4) | instskip(SKIP_1) | instid1(VALU_DEP_4)
	v_add_f32_e32 v65, v65, v68
	v_add_f32_e32 v27, v40, v27
	;; [unrolled: 1-line block ×3, first 2 shown]
	v_mul_f32_e32 v71, 0xbf65296c, v67
	v_fmamk_f32 v69, v30, 0xbeb8f4ab, v37
	v_dual_fmac_f32 v37, 0x3eb8f4ab, v30 :: v_dual_sub_f32 v30, v36, v39
	s_delay_alu instid0(VALU_DEP_3) | instskip(SKIP_1) | instid1(VALU_DEP_3)
	v_dual_mul_f32 v39, 0x3ee437d1, v38 :: v_dual_fmamk_f32 v36, v70, 0x3ee437d1, v71
	v_mul_f32_e32 v40, 0xbf4c4adb, v67
	v_add_f32_e32 v28, v37, v28
	v_fma_f32 v42, 0x3ee437d1, v70, -v71
	s_delay_alu instid0(VALU_DEP_4) | instskip(SKIP_1) | instid1(VALU_DEP_3)
	v_dual_fmamk_f32 v37, v30, 0x3f65296c, v39 :: v_dual_add_f32 v36, v36, v47
	v_fmac_f32_e32 v39, 0xbf65296c, v30
	v_dual_mul_f32 v47, 0xbf1a4643, v38 :: v_dual_add_f32 v42, v42, v44
	s_delay_alu instid0(VALU_DEP_3) | instskip(NEXT) | instid1(VALU_DEP_3)
	v_dual_add_f32 v29, v37, v29 :: v_dual_mul_f32 v44, 0x3e3c28d5, v67
	v_add_f32_e32 v35, v39, v35
	s_delay_alu instid0(VALU_DEP_3) | instskip(SKIP_3) | instid1(VALU_DEP_4)
	v_fmamk_f32 v39, v30, 0x3f4c4adb, v47
	v_fmac_f32_e32 v47, 0xbf4c4adb, v30
	v_add_f32_e32 v41, v69, v41
	v_mul_f32_e32 v69, 0xbe8c1d8e, v38
	v_add_f32_e32 v39, v39, v46
	s_delay_alu instid0(VALU_DEP_4) | instskip(SKIP_1) | instid1(VALU_DEP_2)
	v_dual_add_f32 v32, v47, v32 :: v_dual_fmamk_f32 v37, v70, 0xbf1a4643, v40
	v_fma_f32 v40, 0xbf1a4643, v70, -v40
	v_dual_mul_f32 v46, 0xbf7ba420, v38 :: v_dual_add_f32 v37, v37, v43
	v_fmamk_f32 v43, v70, 0xbf7ba420, v44
	s_delay_alu instid0(VALU_DEP_3) | instskip(SKIP_1) | instid1(VALU_DEP_4)
	v_add_f32_e32 v31, v40, v31
	v_mul_f32_e32 v40, 0x3f763a35, v67
	v_fmamk_f32 v47, v30, 0xbe3c28d5, v46
	v_fma_f32 v44, 0xbf7ba420, v70, -v44
	v_dual_add_f32 v43, v43, v48 :: v_dual_fmac_f32 v46, 0x3e3c28d5, v30
	s_delay_alu instid0(VALU_DEP_4) | instskip(SKIP_1) | instid1(VALU_DEP_4)
	v_fmamk_f32 v48, v70, 0xbe8c1d8e, v40
	v_fma_f32 v40, 0xbe8c1d8e, v70, -v40
	v_add_f32_e32 v44, v44, v45
	v_add_f32_e32 v47, v47, v49
	;; [unrolled: 1-line block ×4, first 2 shown]
	v_fmamk_f32 v48, v30, 0xbf763a35, v69
	v_fmac_f32_e32 v69, 0x3f763a35, v30
	v_mul_f32_e32 v50, 0x3f3d2fb0, v38
	v_add_f32_e32 v40, v40, v51
	s_delay_alu instid0(VALU_DEP_3) | instskip(NEXT) | instid1(VALU_DEP_3)
	v_dual_add_f32 v48, v48, v52 :: v_dual_add_f32 v51, v69, v53
	v_fmamk_f32 v53, v30, 0xbf2c7751, v50
	v_dual_fmac_f32 v50, 0x3f2c7751, v30 :: v_dual_mul_f32 v49, 0x3f2c7751, v67
	s_delay_alu instid0(VALU_DEP_2) | instskip(SKIP_1) | instid1(VALU_DEP_3)
	v_dual_mul_f32 v54, 0xbeb8f4ab, v67 :: v_dual_add_f32 v53, v53, v57
	v_mul_f32_e32 v57, 0x3f6eb680, v38
	v_fmamk_f32 v52, v70, 0x3f3d2fb0, v49
	v_fma_f32 v49, 0x3f3d2fb0, v70, -v49
	v_add_f32_e32 v50, v50, v59
	s_delay_alu instid0(VALU_DEP_3) | instskip(NEXT) | instid1(VALU_DEP_3)
	v_dual_fmamk_f32 v59, v30, 0x3eb8f4ab, v57 :: v_dual_add_f32 v52, v52, v56
	v_dual_fmamk_f32 v56, v70, 0x3f6eb680, v54 :: v_dual_add_f32 v49, v49, v58
	v_mul_f32_e32 v58, 0xbf7ee86f, v67
	v_fma_f32 v54, 0x3f6eb680, v70, -v54
	s_delay_alu instid0(VALU_DEP_3) | instskip(NEXT) | instid1(VALU_DEP_3)
	v_dual_fmac_f32 v57, 0xbeb8f4ab, v30 :: v_dual_add_f32 v56, v56, v60
	v_dual_mul_f32 v69, 0x3dbcf732, v38 :: v_dual_fmamk_f32 v60, v70, 0x3dbcf732, v58
	v_mul_f32_e32 v38, 0xbf59a7d5, v38
	s_delay_alu instid0(VALU_DEP_3) | instskip(SKIP_1) | instid1(VALU_DEP_4)
	v_dual_add_f32 v54, v54, v55 :: v_dual_add_f32 v55, v57, v64
	v_fma_f32 v58, 0x3dbcf732, v70, -v58
	v_dual_add_f32 v57, v60, v66 :: v_dual_fmamk_f32 v60, v30, 0x3f7ee86f, v69
	v_fmac_f32_e32 v69, 0xbf7ee86f, v30
	v_fmamk_f32 v64, v30, 0x3f06c442, v38
	s_delay_alu instid0(VALU_DEP_4) | instskip(SKIP_1) | instid1(VALU_DEP_4)
	v_add_f32_e32 v58, v58, v63
	v_fmac_f32_e32 v38, 0xbf06c442, v30
	v_dual_add_f32 v60, v60, v62 :: v_dual_add_f32 v63, v69, v65
	s_delay_alu instid0(VALU_DEP_4) | instskip(SKIP_3) | instid1(VALU_DEP_2)
	v_dual_add_f32 v41, v64, v41 :: v_dual_add_f32 v64, v25, v34
	v_sub_f32_e32 v25, v25, v34
	v_sub_f32_e32 v65, v26, v33
	v_add_f32_e32 v26, v26, v33
	v_dual_add_f32 v28, v38, v28 :: v_dual_mul_f32 v33, 0xbf7ee86f, v65
	s_delay_alu instid0(VALU_DEP_2) | instskip(SKIP_1) | instid1(VALU_DEP_3)
	v_mul_f32_e32 v30, 0x3dbcf732, v26
	v_mul_f32_e32 v38, 0xbe3c28d5, v65
	v_fmamk_f32 v34, v64, 0x3dbcf732, v33
	v_fma_f32 v33, 0x3dbcf732, v64, -v33
	s_delay_alu instid0(VALU_DEP_1) | instskip(SKIP_4) | instid1(VALU_DEP_3)
	v_dual_add_f32 v34, v34, v36 :: v_dual_add_f32 v33, v33, v42
	v_dual_mul_f32 v42, 0xbe8c1d8e, v26 :: v_dual_add_f32 v59, v59, v61
	v_mul_f32_e32 v61, 0xbf06c442, v67
	v_fmamk_f32 v36, v64, 0xbf7ba420, v38
	v_fma_f32 v38, 0xbf7ba420, v64, -v38
	v_fmamk_f32 v62, v70, 0xbf59a7d5, v61
	v_fma_f32 v61, 0xbf59a7d5, v70, -v61
	s_delay_alu instid0(VALU_DEP_3) | instskip(SKIP_1) | instid1(VALU_DEP_3)
	v_dual_add_f32 v31, v38, v31 :: v_dual_fmamk_f32 v38, v25, 0xbf763a35, v42
	v_fmac_f32_e32 v42, 0x3f763a35, v25
	v_dual_add_f32 v62, v62, v68 :: v_dual_add_f32 v27, v61, v27
	v_fmamk_f32 v61, v25, 0x3f7ee86f, v30
	v_fmac_f32_e32 v30, 0xbf7ee86f, v25
	v_add_f32_e32 v38, v38, v47
	v_add_f32_e32 v42, v42, v45
	s_delay_alu instid0(VALU_DEP_4) | instskip(NEXT) | instid1(VALU_DEP_4)
	v_add_f32_e32 v29, v61, v29
	v_dual_mul_f32 v61, 0xbf7ba420, v26 :: v_dual_add_f32 v30, v30, v35
	v_add_f32_e32 v35, v36, v37
	v_mul_f32_e32 v36, 0x3f763a35, v65
	v_mul_f32_e32 v47, 0x3f6eb680, v26
	s_delay_alu instid0(VALU_DEP_4) | instskip(SKIP_1) | instid1(VALU_DEP_4)
	v_fmamk_f32 v37, v25, 0x3e3c28d5, v61
	v_fmac_f32_e32 v61, 0xbe3c28d5, v25
	v_fmamk_f32 v66, v64, 0xbe8c1d8e, v36
	v_fma_f32 v36, 0xbe8c1d8e, v64, -v36
	s_delay_alu instid0(VALU_DEP_4) | instskip(NEXT) | instid1(VALU_DEP_3)
	v_add_f32_e32 v37, v37, v39
	v_dual_add_f32 v32, v61, v32 :: v_dual_add_f32 v39, v66, v43
	s_delay_alu instid0(VALU_DEP_3) | instskip(SKIP_3) | instid1(VALU_DEP_4)
	v_dual_mul_f32 v43, 0x3eb8f4ab, v65 :: v_dual_add_f32 v36, v36, v44
	v_mul_f32_e32 v44, 0xbf65296c, v65
	v_fmamk_f32 v45, v25, 0xbeb8f4ab, v47
	v_fmac_f32_e32 v47, 0x3eb8f4ab, v25
	v_fmamk_f32 v61, v64, 0x3f6eb680, v43
	v_fma_f32 v43, 0x3f6eb680, v64, -v43
	s_delay_alu instid0(VALU_DEP_4) | instskip(NEXT) | instid1(VALU_DEP_3)
	v_dual_add_f32 v45, v45, v48 :: v_dual_mul_f32 v48, 0x3ee437d1, v26
	v_dual_add_f32 v46, v61, v46 :: v_dual_fmamk_f32 v61, v64, 0x3ee437d1, v44
	s_delay_alu instid0(VALU_DEP_3) | instskip(SKIP_2) | instid1(VALU_DEP_4)
	v_add_f32_e32 v40, v43, v40
	v_add_f32_e32 v43, v47, v51
	v_fma_f32 v44, 0x3ee437d1, v64, -v44
	v_add_f32_e32 v47, v61, v52
	v_fmamk_f32 v52, v25, 0x3f65296c, v48
	v_mul_f32_e32 v51, 0xbf06c442, v65
	s_delay_alu instid0(VALU_DEP_4) | instskip(NEXT) | instid1(VALU_DEP_3)
	v_dual_add_f32 v44, v44, v49 :: v_dual_mul_f32 v61, 0xbf59a7d5, v26
	v_add_f32_e32 v52, v52, v53
	s_delay_alu instid0(VALU_DEP_3) | instskip(SKIP_2) | instid1(VALU_DEP_2)
	v_fmamk_f32 v66, v64, 0xbf59a7d5, v51
	v_fmac_f32_e32 v48, 0xbf65296c, v25
	v_fma_f32 v51, 0xbf59a7d5, v64, -v51
	v_dual_add_f32 v48, v48, v50 :: v_dual_fmamk_f32 v49, v25, 0x3f06c442, v61
	s_delay_alu instid0(VALU_DEP_4) | instskip(SKIP_1) | instid1(VALU_DEP_4)
	v_dual_add_f32 v50, v66, v56 :: v_dual_mul_f32 v53, 0x3f4c4adb, v65
	v_fmac_f32_e32 v61, 0xbf06c442, v25
	v_add_f32_e32 v51, v51, v54
	s_delay_alu instid0(VALU_DEP_4) | instskip(NEXT) | instid1(VALU_DEP_3)
	v_dual_add_f32 v49, v49, v59 :: v_dual_mul_f32 v56, 0xbf1a4643, v26
	v_dual_fmamk_f32 v59, v64, 0xbf1a4643, v53 :: v_dual_add_f32 v54, v61, v55
	v_mul_f32_e32 v55, 0x3f2c7751, v65
	v_fma_f32 v53, 0xbf1a4643, v64, -v53
	s_delay_alu instid0(VALU_DEP_3) | instskip(NEXT) | instid1(VALU_DEP_3)
	v_dual_mul_f32 v26, 0x3f3d2fb0, v26 :: v_dual_add_f32 v57, v59, v57
	v_fmamk_f32 v59, v64, 0x3f3d2fb0, v55
	s_delay_alu instid0(VALU_DEP_3) | instskip(SKIP_4) | instid1(VALU_DEP_4)
	v_add_f32_e32 v53, v53, v58
	v_fmamk_f32 v61, v25, 0xbf4c4adb, v56
	v_fmac_f32_e32 v56, 0x3f4c4adb, v25
	v_fma_f32 v55, 0x3f3d2fb0, v64, -v55
	v_dual_add_f32 v58, v59, v62 :: v_dual_sub_f32 v59, v22, v24
	v_add_f32_e32 v60, v61, v60
	v_dual_fmamk_f32 v61, v25, 0xbf2c7751, v26 :: v_dual_add_f32 v22, v22, v24
	v_add_f32_e32 v24, v21, v23
	s_delay_alu instid0(VALU_DEP_4) | instskip(SKIP_1) | instid1(VALU_DEP_4)
	v_mul_f32_e32 v62, 0xbf763a35, v59
	v_fmac_f32_e32 v26, 0x3f2c7751, v25
	v_add_f32_e32 v25, v61, v41
	v_sub_f32_e32 v21, v21, v23
	v_mul_f32_e32 v23, 0xbe8c1d8e, v22
	s_delay_alu instid0(VALU_DEP_4) | instskip(SKIP_2) | instid1(VALU_DEP_4)
	v_dual_add_f32 v27, v55, v27 :: v_dual_add_f32 v26, v26, v28
	v_fmamk_f32 v41, v24, 0xbe8c1d8e, v62
	v_mul_f32_e32 v55, 0x3f06c442, v59
	v_fmamk_f32 v28, v21, 0x3f763a35, v23
	v_fmac_f32_e32 v23, 0xbf763a35, v21
	v_mul_f32_e32 v61, 0xbf59a7d5, v22
	v_add_f32_e32 v34, v41, v34
	v_fma_f32 v41, 0xbe8c1d8e, v24, -v62
	s_delay_alu instid0(VALU_DEP_4) | instskip(SKIP_1) | instid1(VALU_DEP_3)
	v_dual_add_f32 v28, v28, v29 :: v_dual_add_f32 v23, v23, v30
	v_mul_f32_e32 v30, 0x3f2c7751, v59
	v_dual_mul_f32 v62, 0x3f3d2fb0, v22 :: v_dual_add_f32 v33, v41, v33
	v_fma_f32 v41, 0xbf59a7d5, v24, -v55
	v_add_f32_e32 v56, v56, v63
	s_delay_alu instid0(VALU_DEP_2) | instskip(SKIP_3) | instid1(VALU_DEP_3)
	v_add_f32_e32 v31, v41, v31
	v_fmamk_f32 v29, v24, 0xbf59a7d5, v55
	v_fmamk_f32 v55, v24, 0x3f3d2fb0, v30
	v_fma_f32 v30, 0x3f3d2fb0, v24, -v30
	v_add_f32_e32 v29, v29, v35
	s_delay_alu instid0(VALU_DEP_2) | instskip(NEXT) | instid1(VALU_DEP_1)
	v_dual_fmamk_f32 v35, v21, 0xbf06c442, v61 :: v_dual_add_f32 v30, v30, v36
	v_add_f32_e32 v35, v35, v37
	v_add_f32_e32 v37, v55, v39
	v_fmamk_f32 v39, v21, 0xbf2c7751, v62
	v_fmac_f32_e32 v62, 0x3f2c7751, v21
	v_mul_f32_e32 v55, 0x3ee437d1, v22
	s_delay_alu instid0(VALU_DEP_3) | instskip(NEXT) | instid1(VALU_DEP_3)
	v_dual_add_f32 v38, v39, v38 :: v_dual_fmac_f32 v61, 0x3f06c442, v21
	v_add_f32_e32 v36, v62, v42
	v_mul_f32_e32 v62, 0x3dbcf732, v22
	v_mul_f32_e32 v41, 0xbf65296c, v59
	v_fmamk_f32 v42, v21, 0x3f65296c, v55
	v_dual_add_f32 v32, v61, v32 :: v_dual_mul_f32 v61, 0xbe3c28d5, v59
	v_fmac_f32_e32 v55, 0xbf65296c, v21
	s_delay_alu instid0(VALU_DEP_4) | instskip(SKIP_1) | instid1(VALU_DEP_4)
	v_fmamk_f32 v39, v24, 0x3ee437d1, v41
	v_fma_f32 v41, 0x3ee437d1, v24, -v41
	v_dual_add_f32 v42, v42, v45 :: v_dual_fmamk_f32 v45, v24, 0xbf7ba420, v61
	s_delay_alu instid0(VALU_DEP_3) | instskip(SKIP_1) | instid1(VALU_DEP_4)
	v_add_f32_e32 v39, v39, v46
	v_mul_f32_e32 v46, 0xbf7ba420, v22
	v_dual_add_f32 v40, v41, v40 :: v_dual_add_f32 v41, v55, v43
	v_mul_f32_e32 v43, 0x3f7ee86f, v59
	v_add_f32_e32 v45, v45, v47
	s_delay_alu instid0(VALU_DEP_4)
	v_fmamk_f32 v47, v21, 0x3e3c28d5, v46
	v_fma_f32 v55, 0xbf7ba420, v24, -v61
	v_fmac_f32_e32 v46, 0xbe3c28d5, v21
	v_fmamk_f32 v61, v24, 0x3dbcf732, v43
	v_fma_f32 v43, 0x3dbcf732, v24, -v43
	v_dual_add_f32 v47, v47, v52 :: v_dual_mul_f32 v52, 0xbeb8f4ab, v59
	s_delay_alu instid0(VALU_DEP_4) | instskip(NEXT) | instid1(VALU_DEP_4)
	v_add_f32_e32 v46, v46, v48
	v_add_f32_e32 v48, v61, v50
	v_fmamk_f32 v50, v21, 0xbf7ee86f, v62
	v_dual_mul_f32 v59, 0xbf4c4adb, v59 :: v_dual_add_f32 v44, v55, v44
	s_delay_alu instid0(VALU_DEP_2) | instskip(SKIP_2) | instid1(VALU_DEP_3)
	v_dual_add_f32 v49, v50, v49 :: v_dual_fmamk_f32 v50, v24, 0x3f6eb680, v52
	v_fma_f32 v52, 0x3f6eb680, v24, -v52
	v_fmac_f32_e32 v62, 0x3f7ee86f, v21
	v_add_f32_e32 v50, v50, v57
	s_delay_alu instid0(VALU_DEP_3)
	v_dual_add_f32 v52, v52, v53 :: v_dual_mul_f32 v55, 0x3f6eb680, v22
	v_sub_f32_e32 v53, v18, v20
	v_add_f32_e32 v18, v18, v20
	v_fma_f32 v20, 0xbf1a4643, v24, -v59
	v_add_f32_e32 v43, v43, v51
	v_fmamk_f32 v51, v21, 0x3eb8f4ab, v55
	v_fmac_f32_e32 v55, 0xbeb8f4ab, v21
	v_mul_f32_e32 v22, 0xbf1a4643, v22
	v_add_f32_e32 v20, v20, v27
	v_dual_fmamk_f32 v57, v24, 0xbf1a4643, v59 :: v_dual_add_f32 v54, v62, v54
	s_delay_alu instid0(VALU_DEP_1)
	v_dual_add_f32 v55, v55, v56 :: v_dual_add_f32 v56, v57, v58
	v_add_f32_e32 v58, v17, v19
	v_sub_f32_e32 v17, v17, v19
	v_dual_add_f32 v51, v51, v60 :: v_dual_mul_f32 v60, 0xbf4c4adb, v53
	v_fmamk_f32 v57, v21, 0x3f4c4adb, v22
	v_fmac_f32_e32 v22, 0xbf4c4adb, v21
	v_mul_f32_e32 v21, 0xbf1a4643, v18
	s_delay_alu instid0(VALU_DEP_4) | instskip(NEXT) | instid1(VALU_DEP_4)
	v_fma_f32 v27, 0xbf1a4643, v58, -v60
	v_add_f32_e32 v24, v57, v25
	s_delay_alu instid0(VALU_DEP_3) | instskip(SKIP_1) | instid1(VALU_DEP_4)
	v_dual_add_f32 v22, v22, v26 :: v_dual_fmamk_f32 v25, v17, 0x3f4c4adb, v21
	v_mul_f32_e32 v26, 0x3f763a35, v53
	v_add_f32_e32 v27, v27, v33
	v_fmamk_f32 v19, v58, 0xbf1a4643, v60
	v_fmac_f32_e32 v21, 0xbf4c4adb, v17
	s_delay_alu instid0(VALU_DEP_4) | instskip(SKIP_1) | instid1(VALU_DEP_4)
	v_dual_add_f32 v25, v25, v28 :: v_dual_fmamk_f32 v28, v58, 0xbe8c1d8e, v26
	v_mul_f32_e32 v33, 0xbeb8f4ab, v53
	v_add_f32_e32 v19, v19, v34
	s_delay_alu instid0(VALU_DEP_4) | instskip(SKIP_1) | instid1(VALU_DEP_4)
	v_dual_mul_f32 v34, 0xbe8c1d8e, v18 :: v_dual_add_f32 v21, v21, v23
	v_fma_f32 v26, 0xbe8c1d8e, v58, -v26
	v_dual_add_f32 v28, v28, v29 :: v_dual_fmamk_f32 v29, v58, 0x3f6eb680, v33
	s_delay_alu instid0(VALU_DEP_3) | instskip(SKIP_1) | instid1(VALU_DEP_4)
	v_fmamk_f32 v23, v17, 0xbf763a35, v34
	v_fmac_f32_e32 v34, 0x3f763a35, v17
	v_add_f32_e32 v26, v26, v31
	v_fma_f32 v33, 0x3f6eb680, v58, -v33
	v_add_f32_e32 v29, v29, v37
	v_add_f32_e32 v23, v23, v35
	v_mul_f32_e32 v35, 0x3f6eb680, v18
	v_dual_add_f32 v31, v34, v32 :: v_dual_mul_f32 v32, 0xbf06c442, v53
	v_add_f32_e32 v30, v33, v30
	s_delay_alu instid0(VALU_DEP_3) | instskip(SKIP_1) | instid1(VALU_DEP_4)
	v_fmamk_f32 v34, v17, 0x3eb8f4ab, v35
	v_fmac_f32_e32 v35, 0xbeb8f4ab, v17
	v_fmamk_f32 v37, v58, 0xbf59a7d5, v32
	v_fma_f32 v32, 0xbf59a7d5, v58, -v32
	s_delay_alu instid0(VALU_DEP_3) | instskip(NEXT) | instid1(VALU_DEP_3)
	v_dual_add_f32 v34, v34, v38 :: v_dual_add_f32 v33, v35, v36
	v_add_f32_e32 v35, v37, v39
	v_mul_f32_e32 v37, 0x3f7ee86f, v53
	v_mul_f32_e32 v38, 0x3dbcf732, v18
	s_delay_alu instid0(VALU_DEP_2) | instskip(SKIP_1) | instid1(VALU_DEP_2)
	v_dual_add_f32 v32, v32, v40 :: v_dual_fmamk_f32 v39, v58, 0x3dbcf732, v37
	v_fma_f32 v37, 0x3dbcf732, v58, -v37
	v_add_f32_e32 v39, v39, v45
	s_delay_alu instid0(VALU_DEP_2) | instskip(SKIP_2) | instid1(VALU_DEP_2)
	v_add_f32_e32 v37, v37, v44
	v_mul_f32_e32 v57, 0xbf59a7d5, v18
	v_mul_f32_e32 v44, 0xbe3c28d5, v53
	v_fmamk_f32 v36, v17, 0x3f06c442, v57
	s_delay_alu instid0(VALU_DEP_1) | instskip(SKIP_1) | instid1(VALU_DEP_2)
	v_dual_fmac_f32 v57, 0xbf06c442, v17 :: v_dual_add_f32 v36, v36, v42
	v_mul_f32_e32 v42, 0xbf2c7751, v53
	v_dual_add_f32 v40, v57, v41 :: v_dual_mul_f32 v57, 0xbf7ba420, v18
	s_delay_alu instid0(VALU_DEP_2) | instskip(SKIP_1) | instid1(VALU_DEP_2)
	v_fmamk_f32 v45, v58, 0x3f3d2fb0, v42
	v_fma_f32 v42, 0x3f3d2fb0, v58, -v42
	v_add_f32_e32 v45, v45, v48
	v_fmamk_f32 v41, v17, 0xbf7ee86f, v38
	v_fmac_f32_e32 v38, 0x3f7ee86f, v17
	v_fmamk_f32 v48, v58, 0xbf7ba420, v44
	v_add_f32_e32 v42, v42, v43
	v_fma_f32 v44, 0xbf7ba420, v58, -v44
	v_add_f32_e32 v41, v41, v47
	v_mul_f32_e32 v47, 0x3f3d2fb0, v18
	v_add_f32_e32 v38, v38, v46
	v_mul_f32_e32 v18, 0x3ee437d1, v18
	v_add_f32_e32 v44, v44, v52
	s_delay_alu instid0(VALU_DEP_4) | instskip(SKIP_1) | instid1(VALU_DEP_1)
	v_fmamk_f32 v46, v17, 0x3f2c7751, v47
	v_fmac_f32_e32 v47, 0xbf2c7751, v17
	v_dual_add_f32 v46, v46, v49 :: v_dual_add_f32 v43, v47, v54
	v_dual_add_f32 v47, v48, v50 :: v_dual_fmamk_f32 v48, v17, 0x3e3c28d5, v57
	v_mul_f32_e32 v49, 0x3f65296c, v53
	v_sub_f32_e32 v53, v14, v16
	v_add_f32_e32 v14, v14, v16
	s_delay_alu instid0(VALU_DEP_4) | instskip(NEXT) | instid1(VALU_DEP_4)
	v_add_f32_e32 v48, v48, v51
	v_fmamk_f32 v50, v58, 0x3ee437d1, v49
	v_fmamk_f32 v51, v17, 0xbf65296c, v18
	v_mul_f32_e32 v16, 0xbf06c442, v53
	v_fma_f32 v49, 0x3ee437d1, v58, -v49
	v_fmac_f32_e32 v18, 0x3f65296c, v17
	s_delay_alu instid0(VALU_DEP_4) | instskip(SKIP_3) | instid1(VALU_DEP_3)
	v_dual_fmac_f32 v57, 0xbe3c28d5, v17 :: v_dual_add_f32 v24, v51, v24
	v_add_f32_e32 v51, v13, v15
	v_sub_f32_e32 v13, v13, v15
	v_dual_mul_f32 v15, 0xbf59a7d5, v14 :: v_dual_add_f32 v20, v49, v20
	v_dual_add_f32 v18, v18, v22 :: v_dual_fmamk_f32 v17, v51, 0xbf59a7d5, v16
	v_mul_f32_e32 v22, 0x3f65296c, v53
	s_delay_alu instid0(VALU_DEP_3)
	v_fmamk_f32 v49, v13, 0x3f06c442, v15
	v_fma_f32 v16, 0xbf59a7d5, v51, -v16
	v_fmac_f32_e32 v15, 0xbf06c442, v13
	v_add_f32_e32 v17, v17, v19
	v_fmamk_f32 v19, v51, 0x3ee437d1, v22
	v_add_f32_e32 v25, v49, v25
	v_mul_f32_e32 v49, 0x3ee437d1, v14
	v_add_f32_e32 v15, v15, v21
	v_mul_f32_e32 v21, 0xbf7ee86f, v53
	v_dual_add_f32 v19, v19, v28 :: v_dual_mul_f32 v28, 0x3dbcf732, v14
	s_delay_alu instid0(VALU_DEP_4)
	v_dual_add_f32 v16, v16, v27 :: v_dual_fmamk_f32 v27, v13, 0xbf65296c, v49
	v_fma_f32 v22, 0x3ee437d1, v51, -v22
	v_fmac_f32_e32 v49, 0x3f65296c, v13
	v_fmamk_f32 v54, v51, 0x3dbcf732, v21
	v_fma_f32 v21, 0x3dbcf732, v51, -v21
	v_add_f32_e32 v23, v27, v23
	v_dual_fmamk_f32 v27, v13, 0x3f7ee86f, v28 :: v_dual_add_f32 v22, v22, v26
	v_dual_add_f32 v26, v49, v31 :: v_dual_mul_f32 v31, 0x3f4c4adb, v53
	s_delay_alu instid0(VALU_DEP_2) | instskip(SKIP_2) | instid1(VALU_DEP_4)
	v_dual_fmac_f32 v28, 0xbf7ee86f, v13 :: v_dual_add_f32 v27, v27, v34
	v_mul_f32_e32 v34, 0xbf1a4643, v14
	v_add_f32_e32 v21, v21, v30
	v_fmamk_f32 v49, v51, 0xbf1a4643, v31
	v_mul_f32_e32 v30, 0xbeb8f4ab, v53
	s_delay_alu instid0(VALU_DEP_4) | instskip(SKIP_1) | instid1(VALU_DEP_4)
	v_dual_add_f32 v28, v28, v33 :: v_dual_fmamk_f32 v33, v13, 0xbf4c4adb, v34
	v_fma_f32 v31, 0xbf1a4643, v51, -v31
	v_dual_fmac_f32 v34, 0x3f4c4adb, v13 :: v_dual_add_f32 v35, v49, v35
	s_delay_alu instid0(VALU_DEP_4) | instskip(NEXT) | instid1(VALU_DEP_4)
	v_fmamk_f32 v49, v51, 0x3f6eb680, v30
	v_dual_add_f32 v33, v33, v36 :: v_dual_mul_f32 v36, 0x3f6eb680, v14
	s_delay_alu instid0(VALU_DEP_4) | instskip(NEXT) | instid1(VALU_DEP_4)
	v_add_f32_e32 v31, v31, v32
	v_add_f32_e32 v32, v34, v40
	v_fma_f32 v30, 0x3f6eb680, v51, -v30
	s_delay_alu instid0(VALU_DEP_4) | instskip(SKIP_3) | instid1(VALU_DEP_4)
	v_dual_add_f32 v29, v54, v29 :: v_dual_fmamk_f32 v40, v13, 0x3eb8f4ab, v36
	v_dual_add_f32 v34, v49, v39 :: v_dual_mul_f32 v39, 0xbe3c28d5, v53
	v_mul_f32_e32 v49, 0xbf7ba420, v14
	v_fmac_f32_e32 v36, 0xbeb8f4ab, v13
	v_add_f32_e32 v40, v40, v41
	v_mul_f32_e32 v41, 0x3f2c7751, v53
	v_fmamk_f32 v54, v51, 0xbf7ba420, v39
	v_dual_add_f32 v30, v30, v37 :: v_dual_fmamk_f32 v37, v13, 0x3e3c28d5, v49
	v_fma_f32 v39, 0xbf7ba420, v51, -v39
	v_dual_fmac_f32 v49, 0xbe3c28d5, v13 :: v_dual_add_f32 v36, v36, v38
	s_delay_alu instid0(VALU_DEP_3) | instskip(SKIP_1) | instid1(VALU_DEP_3)
	v_dual_add_f32 v38, v54, v45 :: v_dual_add_f32 v37, v37, v46
	v_dual_mul_f32 v45, 0x3f3d2fb0, v14 :: v_dual_fmamk_f32 v46, v51, 0x3f3d2fb0, v41
	v_dual_add_f32 v39, v39, v42 :: v_dual_add_f32 v42, v49, v43
	v_dual_mul_f32 v43, 0xbf763a35, v53 :: v_dual_add_f32 v52, v57, v55
	s_delay_alu instid0(VALU_DEP_3) | instskip(NEXT) | instid1(VALU_DEP_4)
	v_dual_add_f32 v50, v50, v56 :: v_dual_fmamk_f32 v49, v13, 0xbf2c7751, v45
	v_add_f32_e32 v46, v46, v47
	v_fma_f32 v41, 0x3f3d2fb0, v51, -v41
	v_fmac_f32_e32 v45, 0x3f2c7751, v13
	v_dual_fmamk_f32 v47, v51, 0xbe8c1d8e, v43 :: v_dual_mul_f32 v14, 0xbe8c1d8e, v14
	v_fma_f32 v43, 0xbe8c1d8e, v51, -v43
	s_delay_alu instid0(VALU_DEP_4) | instskip(NEXT) | instid1(VALU_DEP_4)
	v_add_f32_e32 v41, v41, v44
	v_add_f32_e32 v44, v45, v52
	v_sub_f32_e32 v52, v9, v10
	v_add_f32_e32 v45, v47, v50
	v_sub_f32_e32 v47, v11, v12
	v_dual_add_f32 v50, v11, v12 :: v_dual_add_f32 v51, v9, v10
	v_add_f32_e32 v48, v49, v48
	v_add_f32_e32 v43, v43, v20
	s_delay_alu instid0(VALU_DEP_4) | instskip(NEXT) | instid1(VALU_DEP_4)
	v_mul_f32_e32 v11, 0xbe3c28d5, v47
	v_mul_f32_e32 v12, 0xbf7ba420, v50
	;; [unrolled: 1-line block ×3, first 2 shown]
	v_fmamk_f32 v49, v13, 0x3f763a35, v14
	v_fmac_f32_e32 v14, 0xbf763a35, v13
	v_fmamk_f32 v9, v51, 0xbf7ba420, v11
	v_fmamk_f32 v10, v52, 0x3e3c28d5, v12
	v_fma_f32 v11, 0xbf7ba420, v51, -v11
	s_delay_alu instid0(VALU_DEP_4) | instskip(NEXT) | instid1(VALU_DEP_4)
	v_dual_fmac_f32 v12, 0xbe3c28d5, v52 :: v_dual_add_f32 v53, v14, v18
	v_dual_mul_f32 v14, 0x3eb8f4ab, v47 :: v_dual_add_f32 v9, v9, v17
	v_mul_f32_e32 v17, 0x3f6eb680, v50
	s_delay_alu instid0(VALU_DEP_3) | instskip(NEXT) | instid1(VALU_DEP_3)
	v_dual_add_f32 v11, v11, v16 :: v_dual_add_f32 v12, v12, v15
	v_fmamk_f32 v13, v51, 0x3f6eb680, v14
	v_mul_f32_e32 v18, 0xbf06c442, v47
	s_delay_alu instid0(VALU_DEP_4)
	v_fmamk_f32 v15, v52, 0xbeb8f4ab, v17
	v_fma_f32 v16, 0x3f6eb680, v51, -v14
	v_add_f32_e32 v49, v49, v24
	v_fmac_f32_e32 v17, 0x3eb8f4ab, v52
	v_dual_mul_f32 v24, 0x3f3d2fb0, v50 :: v_dual_add_f32 v13, v13, v19
	v_fmamk_f32 v19, v51, 0xbf59a7d5, v18
	v_dual_add_f32 v14, v15, v23 :: v_dual_add_f32 v15, v16, v22
	v_mul_f32_e32 v22, 0x3f2c7751, v47
	v_add_f32_e32 v10, v10, v25
	v_add_f32_e32 v16, v17, v26
	v_fma_f32 v23, 0xbf59a7d5, v51, -v18
	v_dual_mul_f32 v26, 0xbf4c4adb, v47 :: v_dual_add_f32 v17, v19, v29
	v_fmamk_f32 v19, v52, 0x3f06c442, v20
	v_fmamk_f32 v25, v51, 0x3f3d2fb0, v22
	v_fmac_f32_e32 v20, 0xbf06c442, v52
	s_delay_alu instid0(VALU_DEP_4) | instskip(NEXT) | instid1(VALU_DEP_4)
	v_fma_f32 v29, 0xbf1a4643, v51, -v26
	v_add_f32_e32 v18, v19, v27
	v_add_f32_e32 v19, v23, v21
	v_fmamk_f32 v23, v52, 0xbf2c7751, v24
	v_add_f32_e32 v21, v25, v35
	v_fma_f32 v25, 0x3f3d2fb0, v51, -v22
	v_add_f32_e32 v20, v20, v28
	v_fmac_f32_e32 v24, 0x3f2c7751, v52
	v_add_f32_e32 v22, v23, v33
	v_dual_fmamk_f32 v27, v51, 0xbf1a4643, v26 :: v_dual_mul_f32 v28, 0xbf1a4643, v50
	v_add_f32_e32 v23, v25, v31
	s_delay_alu instid0(VALU_DEP_4) | instskip(NEXT) | instid1(VALU_DEP_3)
	v_dual_mul_f32 v31, 0x3f65296c, v47 :: v_dual_add_f32 v24, v24, v32
	v_add_f32_e32 v25, v27, v34
	s_delay_alu instid0(VALU_DEP_4) | instskip(SKIP_1) | instid1(VALU_DEP_4)
	v_fmamk_f32 v27, v52, 0x3f4c4adb, v28
	v_fmac_f32_e32 v28, 0xbf4c4adb, v52
	v_dual_fmamk_f32 v32, v51, 0x3ee437d1, v31 :: v_dual_mul_f32 v33, 0x3ee437d1, v50
	v_mul_f32_e32 v34, 0xbf763a35, v47
	s_delay_alu instid0(VALU_DEP_4) | instskip(NEXT) | instid1(VALU_DEP_4)
	v_dual_add_f32 v26, v27, v40 :: v_dual_add_f32 v27, v29, v30
	v_add_f32_e32 v28, v28, v36
	s_delay_alu instid0(VALU_DEP_4)
	v_add_f32_e32 v29, v32, v38
	v_fmamk_f32 v30, v52, 0xbf65296c, v33
	v_fma_f32 v31, 0x3ee437d1, v51, -v31
	v_fmac_f32_e32 v33, 0x3f65296c, v52
	v_dual_mul_f32 v36, 0xbe8c1d8e, v50 :: v_dual_fmamk_f32 v35, v51, 0xbe8c1d8e, v34
	v_fma_f32 v38, 0xbe8c1d8e, v51, -v34
	v_mul_f32_e32 v40, 0x3dbcf732, v50
	v_add_f32_e32 v30, v30, v37
	s_delay_alu instid0(VALU_DEP_4) | instskip(SKIP_1) | instid1(VALU_DEP_4)
	v_dual_add_f32 v32, v33, v42 :: v_dual_fmamk_f32 v37, v52, 0x3f763a35, v36
	v_add_f32_e32 v33, v35, v46
	v_dual_add_f32 v35, v38, v41 :: v_dual_fmamk_f32 v38, v52, 0xbf7ee86f, v40
	v_add_f32_e32 v31, v31, v39
	s_delay_alu instid0(VALU_DEP_4) | instskip(SKIP_2) | instid1(VALU_DEP_3)
	v_dual_mul_f32 v39, 0x3f7ee86f, v47 :: v_dual_add_f32 v34, v37, v48
	v_fmac_f32_e32 v40, 0x3f7ee86f, v52
	v_fmac_f32_e32 v36, 0xbf763a35, v52
	v_dual_add_f32 v38, v38, v49 :: v_dual_fmamk_f32 v37, v51, 0x3dbcf732, v39
	v_fma_f32 v39, 0x3dbcf732, v51, -v39
	s_delay_alu instid0(VALU_DEP_4) | instskip(NEXT) | instid1(VALU_DEP_3)
	v_add_f32_e32 v40, v40, v53
	v_dual_add_f32 v36, v36, v44 :: v_dual_add_f32 v37, v37, v45
	s_delay_alu instid0(VALU_DEP_3)
	v_add_f32_e32 v39, v39, v43
	ds_store_2addr_b64 v145, v[0:1], v[9:10] offset1:119
	ds_store_2addr_b64 v8, v[13:14], v[17:18] offset0:110 offset1:229
	ds_store_2addr_b64 v7, v[21:22], v[25:26] offset0:92 offset1:211
	;; [unrolled: 1-line block ×7, first 2 shown]
	ds_store_b64 v145, v[11:12] offset:15232
	global_wb scope:SCOPE_SE
	s_wait_dscnt 0x0
	s_barrier_signal -1
	s_barrier_wait -1
	global_inv scope:SCOPE_SE
	ds_load_2addr_b64 v[9:12], v145 offset1:119
	s_wait_dscnt 0x0
	v_mul_f32_e32 v0, v128, v10
	v_mul_f32_e32 v1, v128, v9
	s_delay_alu instid0(VALU_DEP_2) | instskip(NEXT) | instid1(VALU_DEP_2)
	v_dual_mul_f32 v13, v130, v12 :: v_dual_fmac_f32 v0, v127, v9
	v_fma_f32 v9, v127, v10, -v1
	v_mul_f32_e32 v10, v130, v11
	s_delay_alu instid0(VALU_DEP_3) | instskip(NEXT) | instid1(VALU_DEP_4)
	v_fmac_f32_e32 v13, v129, v11
	v_cvt_f64_f32_e32 v[0:1], v0
	s_delay_alu instid0(VALU_DEP_4) | instskip(NEXT) | instid1(VALU_DEP_4)
	v_cvt_f64_f32_e32 v[16:17], v9
	v_fma_f32 v9, v129, v12, -v10
	s_delay_alu instid0(VALU_DEP_4) | instskip(NEXT) | instid1(VALU_DEP_2)
	v_cvt_f64_f32_e32 v[18:19], v13
	v_cvt_f64_f32_e32 v[20:21], v9
	ds_load_2addr_b64 v[8:11], v8 offset0:110 offset1:229
	ds_load_2addr_b64 v[12:15], v7 offset0:92 offset1:211
	s_clause 0x1
	scratch_load_b64 v[30:31], off, off offset:48 th:TH_LOAD_LU
	scratch_load_b32 v35, off, off offset:56 th:TH_LOAD_LU
	s_wait_dscnt 0x1
	v_mul_f32_e32 v22, v122, v9
	v_mul_f32_e32 v7, v122, v8
	;; [unrolled: 1-line block ×3, first 2 shown]
	s_wait_dscnt 0x0
	v_dual_mul_f32 v25, v126, v10 :: v_dual_mul_f32 v26, v120, v13
	v_fmac_f32_e32 v22, v121, v8
	v_fma_f32 v24, v121, v9, -v7
	v_fmac_f32_e32 v23, v125, v10
	s_delay_alu instid0(VALU_DEP_4)
	v_fma_f32 v11, v125, v11, -v25
	v_fmac_f32_e32 v26, v119, v12
	v_cvt_f64_f32_e32 v[9:10], v22
	s_wait_alu 0xfffe
	v_mul_f64_e32 v[0:1], s[2:3], v[0:1]
	v_mul_f64_e32 v[16:17], s[2:3], v[16:17]
	v_mul_f32_e32 v28, v124, v15
	v_mul_f64_e32 v[18:19], s[2:3], v[18:19]
	v_mul_f32_e32 v29, v124, v14
	v_mul_f32_e32 v27, v120, v12
	v_cvt_f64_f32_e32 v[22:23], v23
	v_mul_f64_e32 v[7:8], s[2:3], v[20:21]
	v_cvt_f64_f32_e32 v[20:21], v24
	v_cvt_f64_f32_e32 v[24:25], v11
	;; [unrolled: 1-line block ×3, first 2 shown]
	v_fmac_f32_e32 v28, v123, v14
	v_fma_f32 v15, v123, v15, -v29
	v_fma_f32 v13, v119, v13, -v27
	s_delay_alu instid0(VALU_DEP_3) | instskip(NEXT) | instid1(VALU_DEP_3)
	v_cvt_f64_f32_e32 v[26:27], v28
	v_cvt_f64_f32_e32 v[28:29], v15
	s_delay_alu instid0(VALU_DEP_3)
	v_cvt_f64_f32_e32 v[13:14], v13
	v_cvt_f32_f64_e32 v0, v[0:1]
	v_cvt_f32_f64_e32 v1, v[16:17]
	v_mul_f64_e32 v[22:23], s[2:3], v[22:23]
	v_cvt_f32_f64_e32 v17, v[7:8]
	v_mul_f64_e32 v[20:21], s[2:3], v[20:21]
	v_mul_f64_e32 v[24:25], s[2:3], v[24:25]
	;; [unrolled: 1-line block ×4, first 2 shown]
	s_wait_loadcnt 0x1
	v_mov_b32_e32 v34, v30
	s_wait_loadcnt 0x0
	v_mad_co_u64_u32 v[32:33], null, s4, v35, 0
	s_delay_alu instid0(VALU_DEP_2) | instskip(NEXT) | instid1(VALU_DEP_1)
	v_mad_co_u64_u32 v[30:31], null, s6, v34, 0
	v_mov_b32_e32 v15, v31
	s_delay_alu instid0(VALU_DEP_3) | instskip(NEXT) | instid1(VALU_DEP_2)
	v_mov_b32_e32 v31, v33
	v_mad_co_u64_u32 v[33:34], null, s7, v34, v[15:16]
	s_delay_alu instid0(VALU_DEP_2) | instskip(SKIP_2) | instid1(VALU_DEP_4)
	v_mad_co_u64_u32 v[15:16], null, s5, v35, v[31:32]
	v_cvt_f32_f64_e32 v16, v[18:19]
	v_mul_f64_e32 v[18:19], s[2:3], v[9:10]
	v_mov_b32_e32 v31, v33
	s_delay_alu instid0(VALU_DEP_4) | instskip(SKIP_1) | instid1(VALU_DEP_3)
	v_mov_b32_e32 v33, v15
	v_mul_f64_e32 v[14:15], s[2:3], v[13:14]
	v_lshlrev_b64_e32 v[7:8], 3, v[30:31]
	v_mul_f64_e32 v[30:31], s[2:3], v[11:12]
	s_delay_alu instid0(VALU_DEP_4) | instskip(NEXT) | instid1(VALU_DEP_3)
	v_lshlrev_b64_e32 v[9:10], 3, v[32:33]
	v_add_co_u32 v7, vcc_lo, s0, v7
	s_wait_alu 0xfffd
	s_delay_alu instid0(VALU_DEP_4) | instskip(SKIP_1) | instid1(VALU_DEP_2)
	v_add_co_ci_u32_e32 v8, vcc_lo, s1, v8, vcc_lo
	s_mul_u64 s[0:1], s[4:5], 0x3b8
	v_add_co_u32 v11, vcc_lo, v7, v9
	s_wait_alu 0xfffd
	s_delay_alu instid0(VALU_DEP_2)
	v_add_co_ci_u32_e32 v12, vcc_lo, v8, v10, vcc_lo
	ds_load_2addr_b64 v[6:9], v6 offset0:74 offset1:193
	s_wait_alu 0xfffe
	v_add_co_u32 v32, vcc_lo, v11, s0
	s_wait_alu 0xfffd
	v_add_co_ci_u32_e32 v33, vcc_lo, s1, v12, vcc_lo
	s_clause 0x1
	global_store_b64 v[11:12], v[0:1], off
	global_store_b64 v[32:33], v[16:17], off
	s_clause 0x1
	scratch_load_b64 v[41:42], off, off offset:16 th:TH_LOAD_LU
	scratch_load_b64 v[54:55], off, off offset:8 th:TH_LOAD_LU
	ds_load_2addr_b64 v[10:13], v5 offset0:56 offset1:175
	scratch_load_b64 v[49:50], off, off th:TH_LOAD_LU ; 8-byte Folded Reload
	v_cvt_f32_f64_e32 v17, v[20:21]
	v_cvt_f32_f64_e32 v20, v[22:23]
	s_wait_dscnt 0x1
	v_mul_f32_e32 v0, v118, v7
	v_mul_f32_e32 v1, v118, v6
	v_cvt_f32_f64_e32 v23, v[14:15]
	v_cvt_f32_f64_e32 v15, v[28:29]
	v_mul_f32_e32 v28, v112, v9
	v_fmac_f32_e32 v0, v117, v6
	v_fma_f32 v1, v117, v7, -v1
	ds_load_2addr_b64 v[4:7], v4 offset0:38 offset1:157
	v_cvt_f32_f64_e32 v21, v[24:25]
	v_cvt_f32_f64_e32 v14, v[26:27]
	v_cvt_f64_f32_e32 v[24:25], v0
	v_cvt_f64_f32_e32 v[26:27], v1
	v_mul_f32_e32 v0, v112, v8
	v_fmac_f32_e32 v28, v111, v8
	v_cvt_f32_f64_e32 v16, v[18:19]
	v_add_co_u32 v18, vcc_lo, v32, s0
	s_wait_dscnt 0x1
	v_mul_f32_e32 v1, v116, v11
	v_mul_f32_e32 v8, v116, v10
	v_fma_f32 v0, v111, v9, -v0
	s_wait_alu 0xfffd
	v_add_co_ci_u32_e32 v19, vcc_lo, s1, v33, vcc_lo
	v_fmac_f32_e32 v1, v115, v10
	v_fma_f32 v34, v115, v11, -v8
	ds_load_2addr_b64 v[8:11], v3 offset0:20 offset1:139
	v_cvt_f32_f64_e32 v22, v[30:31]
	v_cvt_f64_f32_e32 v[30:31], v0
	v_cvt_f64_f32_e32 v[32:33], v1
	ds_load_2addr_b64 v[0:3], v2 offset0:130 offset1:249
	v_cvt_f64_f32_e32 v[28:29], v28
	v_cvt_f64_f32_e32 v[34:35], v34
	v_mul_f64_e32 v[24:25], s[2:3], v[24:25]
	v_mul_f64_e32 v[26:27], s[2:3], v[26:27]
	;; [unrolled: 1-line block ×6, first 2 shown]
	v_cvt_f32_f64_e32 v24, v[24:25]
	v_cvt_f32_f64_e32 v25, v[26:27]
	;; [unrolled: 1-line block ×6, first 2 shown]
	s_wait_loadcnt 0x2
	v_mul_f32_e32 v36, v42, v13
	s_wait_loadcnt_dscnt 0x0
	v_dual_mul_f32 v48, v55, v1 :: v_dual_mul_f32 v45, v50, v8
	s_delay_alu instid0(VALU_DEP_2)
	v_fmac_f32_e32 v36, v41, v12
	v_mul_f32_e32 v12, v42, v12
	scratch_load_b64 v[42:43], off, off offset:32 th:TH_LOAD_LU ; 8-byte Folded Reload
	v_fmac_f32_e32 v48, v54, v0
	v_mul_f32_e32 v0, v55, v0
	v_cvt_f64_f32_e32 v[36:37], v36
	v_fma_f32 v12, v41, v13, -v12
	v_fma_f32 v45, v49, v9, -v45
	s_delay_alu instid0(VALU_DEP_4) | instskip(SKIP_3) | instid1(VALU_DEP_3)
	v_fma_f32 v0, v54, v1, -v0
	v_add_co_u32 v54, vcc_lo, v18, s0
	s_wait_alu 0xfffd
	v_add_co_ci_u32_e32 v55, vcc_lo, s1, v19, vcc_lo
	v_cvt_f64_f32_e32 v[0:1], v0
	s_delay_alu instid0(VALU_DEP_3) | instskip(SKIP_1) | instid1(VALU_DEP_3)
	v_add_co_u32 v56, vcc_lo, v54, s0
	s_wait_alu 0xfffd
	v_add_co_ci_u32_e32 v57, vcc_lo, s1, v55, vcc_lo
	s_delay_alu instid0(VALU_DEP_2) | instskip(SKIP_1) | instid1(VALU_DEP_2)
	v_add_co_u32 v58, vcc_lo, v56, s0
	s_wait_alu 0xfffd
	v_add_co_ci_u32_e32 v59, vcc_lo, s1, v57, vcc_lo
	s_delay_alu instid0(VALU_DEP_2) | instskip(SKIP_1) | instid1(VALU_DEP_2)
	;; [unrolled: 4-line block ×4, first 2 shown]
	v_add_co_u32 v34, vcc_lo, v30, s0
	s_wait_alu 0xfffd
	v_add_co_ci_u32_e32 v35, vcc_lo, s1, v31, vcc_lo
	v_mul_f64_e32 v[36:37], s[2:3], v[36:37]
	v_mul_f64_e32 v[0:1], s[2:3], v[0:1]
	s_delay_alu instid0(VALU_DEP_2)
	v_cvt_f32_f64_e32 v36, v[36:37]
	s_wait_loadcnt 0x0
	v_mul_f32_e32 v38, v43, v5
	v_mul_f32_e32 v39, v43, v4
	scratch_load_b64 v[43:44], off, off offset:40 th:TH_LOAD_LU ; 8-byte Folded Reload
	v_fmac_f32_e32 v38, v42, v4
	v_fma_f32 v39, v42, v5, -v39
	v_cvt_f64_f32_e32 v[4:5], v12
	s_delay_alu instid0(VALU_DEP_1) | instskip(NEXT) | instid1(VALU_DEP_1)
	v_mul_f64_e32 v[4:5], s[2:3], v[4:5]
	v_cvt_f32_f64_e32 v37, v[4:5]
	s_wait_loadcnt 0x0
	v_mul_f32_e32 v40, v44, v7
	v_dual_mul_f32 v13, v44, v6 :: v_dual_mul_f32 v44, v50, v9
	scratch_load_b64 v[50:51], off, off offset:24 th:TH_LOAD_LU ; 8-byte Folded Reload
	v_fmac_f32_e32 v40, v43, v6
	v_fma_f32 v42, v43, v7, -v13
	v_cvt_f64_f32_e32 v[6:7], v38
	v_cvt_f64_f32_e32 v[12:13], v39
	v_fmac_f32_e32 v44, v49, v8
	v_cvt_f64_f32_e32 v[38:39], v40
	ds_load_b64 v[40:41], v145 offset:15232
	v_cvt_f64_f32_e32 v[42:43], v42
	v_cvt_f64_f32_e32 v[48:49], v48
	;; [unrolled: 1-line block ×3, first 2 shown]
	s_clause 0x2
	global_store_b64 v[18:19], v[16:17], off
	global_store_b64 v[54:55], v[20:21], off
	global_store_b64 v[56:57], v[22:23], off
	global_store_b64 v[58:59], v[14:15], off
	global_store_b64 v[26:27], v[24:25], off
	global_store_b64 v[30:31], v[28:29], off
	global_store_b64 v[34:35], v[32:33], off
	s_wait_dscnt 0x0
	v_mul_f32_e32 v52, v114, v41
	v_mul_f32_e32 v53, v114, v40
	s_delay_alu instid0(VALU_DEP_2) | instskip(NEXT) | instid1(VALU_DEP_2)
	v_fmac_f32_e32 v52, v113, v40
	v_fma_f32 v53, v113, v41, -v53
	v_mul_f64_e32 v[6:7], s[2:3], v[6:7]
	v_mul_f64_e32 v[12:13], s[2:3], v[12:13]
	;; [unrolled: 1-line block ×6, first 2 shown]
	v_cvt_f32_f64_e32 v4, v[6:7]
	v_cvt_f32_f64_e32 v5, v[12:13]
	v_add_co_u32 v6, vcc_lo, v34, s0
	v_cvt_f32_f64_e32 v12, v[14:15]
	v_cvt_f32_f64_e32 v13, v[16:17]
	s_wait_alu 0xfffd
	v_add_co_ci_u32_e32 v7, vcc_lo, s1, v35, vcc_lo
	v_cvt_f32_f64_e32 v8, v[8:9]
	v_cvt_f32_f64_e32 v14, v[22:23]
	;; [unrolled: 1-line block ×3, first 2 shown]
	v_add_co_u32 v16, vcc_lo, v6, s0
	s_wait_alu 0xfffd
	v_add_co_ci_u32_e32 v17, vcc_lo, s1, v7, vcc_lo
	global_store_b64 v[6:7], v[36:37], off
	global_store_b64 v[16:17], v[4:5], off
	s_wait_loadcnt 0x0
	v_mul_f32_e32 v46, v51, v11
	v_mul_f32_e32 v47, v51, v10
	;; [unrolled: 1-line block ×3, first 2 shown]
	s_delay_alu instid0(VALU_DEP_3) | instskip(NEXT) | instid1(VALU_DEP_3)
	v_fmac_f32_e32 v46, v50, v10
	v_fma_f32 v47, v50, v11, -v47
	v_mul_f32_e32 v50, v110, v3
	s_delay_alu instid0(VALU_DEP_4)
	v_fma_f32 v51, v109, v3, -v51
	v_cvt_f64_f32_e32 v[10:11], v45
	v_cvt_f64_f32_e32 v[44:45], v46
	;; [unrolled: 1-line block ×3, first 2 shown]
	v_fmac_f32_e32 v50, v109, v2
	v_cvt_f64_f32_e32 v[40:41], v51
	s_delay_alu instid0(VALU_DEP_2)
	v_cvt_f64_f32_e32 v[2:3], v50
	v_cvt_f64_f32_e32 v[50:51], v52
	;; [unrolled: 1-line block ×3, first 2 shown]
	v_mul_f64_e32 v[10:11], s[2:3], v[10:11]
	v_mul_f64_e32 v[18:19], s[2:3], v[44:45]
	;; [unrolled: 1-line block ×7, first 2 shown]
	v_cvt_f32_f64_e32 v9, v[10:11]
	v_cvt_f32_f64_e32 v10, v[18:19]
	;; [unrolled: 1-line block ×3, first 2 shown]
	v_add_co_u32 v18, vcc_lo, v16, s0
	v_cvt_f32_f64_e32 v1, v[38:39]
	s_wait_alu 0xfffd
	v_add_co_ci_u32_e32 v19, vcc_lo, s1, v17, vcc_lo
	v_cvt_f32_f64_e32 v0, v[2:3]
	v_cvt_f32_f64_e32 v2, v[40:41]
	;; [unrolled: 1-line block ×3, first 2 shown]
	v_add_co_u32 v20, vcc_lo, v18, s0
	s_wait_alu 0xfffd
	v_add_co_ci_u32_e32 v21, vcc_lo, s1, v19, vcc_lo
	global_store_b64 v[18:19], v[12:13], off
	v_add_co_u32 v22, vcc_lo, v20, s0
	s_wait_alu 0xfffd
	v_add_co_ci_u32_e32 v23, vcc_lo, s1, v21, vcc_lo
	s_delay_alu instid0(VALU_DEP_2) | instskip(SKIP_1) | instid1(VALU_DEP_2)
	v_add_co_u32 v6, vcc_lo, v22, s0
	s_wait_alu 0xfffd
	v_add_co_ci_u32_e32 v7, vcc_lo, s1, v23, vcc_lo
	s_delay_alu instid0(VALU_DEP_2) | instskip(SKIP_1) | instid1(VALU_DEP_2)
	;; [unrolled: 4-line block ×3, first 2 shown]
	v_add_co_u32 v12, vcc_lo, v4, s0
	s_wait_alu 0xfffd
	v_add_co_ci_u32_e32 v13, vcc_lo, s1, v5, vcc_lo
	global_store_b64 v[20:21], v[8:9], off
	global_store_b64 v[22:23], v[10:11], off
	;; [unrolled: 1-line block ×5, first 2 shown]
.LBB0_10:
	s_nop 0
	s_sendmsg sendmsg(MSG_DEALLOC_VGPRS)
	s_endpgm
	.section	.rodata,"a",@progbits
	.p2align	6, 0x0
	.amdhsa_kernel bluestein_single_fwd_len2023_dim1_sp_op_CI_CI
		.amdhsa_group_segment_fixed_size 16184
		.amdhsa_private_segment_fixed_size 84
		.amdhsa_kernarg_size 104
		.amdhsa_user_sgpr_count 2
		.amdhsa_user_sgpr_dispatch_ptr 0
		.amdhsa_user_sgpr_queue_ptr 0
		.amdhsa_user_sgpr_kernarg_segment_ptr 1
		.amdhsa_user_sgpr_dispatch_id 0
		.amdhsa_user_sgpr_private_segment_size 0
		.amdhsa_wavefront_size32 1
		.amdhsa_uses_dynamic_stack 0
		.amdhsa_enable_private_segment 1
		.amdhsa_system_sgpr_workgroup_id_x 1
		.amdhsa_system_sgpr_workgroup_id_y 0
		.amdhsa_system_sgpr_workgroup_id_z 0
		.amdhsa_system_sgpr_workgroup_info 0
		.amdhsa_system_vgpr_workitem_id 0
		.amdhsa_next_free_vgpr 256
		.amdhsa_next_free_sgpr 20
		.amdhsa_reserve_vcc 1
		.amdhsa_float_round_mode_32 0
		.amdhsa_float_round_mode_16_64 0
		.amdhsa_float_denorm_mode_32 3
		.amdhsa_float_denorm_mode_16_64 3
		.amdhsa_fp16_overflow 0
		.amdhsa_workgroup_processor_mode 1
		.amdhsa_memory_ordered 1
		.amdhsa_forward_progress 0
		.amdhsa_round_robin_scheduling 0
		.amdhsa_exception_fp_ieee_invalid_op 0
		.amdhsa_exception_fp_denorm_src 0
		.amdhsa_exception_fp_ieee_div_zero 0
		.amdhsa_exception_fp_ieee_overflow 0
		.amdhsa_exception_fp_ieee_underflow 0
		.amdhsa_exception_fp_ieee_inexact 0
		.amdhsa_exception_int_div_zero 0
	.end_amdhsa_kernel
	.text
.Lfunc_end0:
	.size	bluestein_single_fwd_len2023_dim1_sp_op_CI_CI, .Lfunc_end0-bluestein_single_fwd_len2023_dim1_sp_op_CI_CI
                                        ; -- End function
	.section	.AMDGPU.csdata,"",@progbits
; Kernel info:
; codeLenInByte = 31576
; NumSgprs: 22
; NumVgprs: 256
; ScratchSize: 84
; MemoryBound: 0
; FloatMode: 240
; IeeeMode: 1
; LDSByteSize: 16184 bytes/workgroup (compile time only)
; SGPRBlocks: 2
; VGPRBlocks: 31
; NumSGPRsForWavesPerEU: 22
; NumVGPRsForWavesPerEU: 256
; Occupancy: 5
; WaveLimiterHint : 1
; COMPUTE_PGM_RSRC2:SCRATCH_EN: 1
; COMPUTE_PGM_RSRC2:USER_SGPR: 2
; COMPUTE_PGM_RSRC2:TRAP_HANDLER: 0
; COMPUTE_PGM_RSRC2:TGID_X_EN: 1
; COMPUTE_PGM_RSRC2:TGID_Y_EN: 0
; COMPUTE_PGM_RSRC2:TGID_Z_EN: 0
; COMPUTE_PGM_RSRC2:TIDIG_COMP_CNT: 0
	.text
	.p2alignl 7, 3214868480
	.fill 96, 4, 3214868480
	.type	__hip_cuid_b7e5bdba854f1291,@object ; @__hip_cuid_b7e5bdba854f1291
	.section	.bss,"aw",@nobits
	.globl	__hip_cuid_b7e5bdba854f1291
__hip_cuid_b7e5bdba854f1291:
	.byte	0                               ; 0x0
	.size	__hip_cuid_b7e5bdba854f1291, 1

	.ident	"AMD clang version 19.0.0git (https://github.com/RadeonOpenCompute/llvm-project roc-6.4.0 25133 c7fe45cf4b819c5991fe208aaa96edf142730f1d)"
	.section	".note.GNU-stack","",@progbits
	.addrsig
	.addrsig_sym __hip_cuid_b7e5bdba854f1291
	.amdgpu_metadata
---
amdhsa.kernels:
  - .args:
      - .actual_access:  read_only
        .address_space:  global
        .offset:         0
        .size:           8
        .value_kind:     global_buffer
      - .actual_access:  read_only
        .address_space:  global
        .offset:         8
        .size:           8
        .value_kind:     global_buffer
      - .actual_access:  read_only
        .address_space:  global
        .offset:         16
        .size:           8
        .value_kind:     global_buffer
      - .actual_access:  read_only
        .address_space:  global
        .offset:         24
        .size:           8
        .value_kind:     global_buffer
      - .actual_access:  read_only
        .address_space:  global
        .offset:         32
        .size:           8
        .value_kind:     global_buffer
      - .offset:         40
        .size:           8
        .value_kind:     by_value
      - .address_space:  global
        .offset:         48
        .size:           8
        .value_kind:     global_buffer
      - .address_space:  global
        .offset:         56
        .size:           8
        .value_kind:     global_buffer
      - .address_space:  global
        .offset:         64
        .size:           8
        .value_kind:     global_buffer
      - .address_space:  global
        .offset:         72
        .size:           8
        .value_kind:     global_buffer
      - .offset:         80
        .size:           4
        .value_kind:     by_value
      - .address_space:  global
        .offset:         88
        .size:           8
        .value_kind:     global_buffer
      - .address_space:  global
        .offset:         96
        .size:           8
        .value_kind:     global_buffer
    .group_segment_fixed_size: 16184
    .kernarg_segment_align: 8
    .kernarg_segment_size: 104
    .language:       OpenCL C
    .language_version:
      - 2
      - 0
    .max_flat_workgroup_size: 119
    .name:           bluestein_single_fwd_len2023_dim1_sp_op_CI_CI
    .private_segment_fixed_size: 84
    .sgpr_count:     22
    .sgpr_spill_count: 0
    .symbol:         bluestein_single_fwd_len2023_dim1_sp_op_CI_CI.kd
    .uniform_work_group_size: 1
    .uses_dynamic_stack: false
    .vgpr_count:     256
    .vgpr_spill_count: 20
    .wavefront_size: 32
    .workgroup_processor_mode: 1
amdhsa.target:   amdgcn-amd-amdhsa--gfx1201
amdhsa.version:
  - 1
  - 2
...

	.end_amdgpu_metadata
